;; amdgpu-corpus repo=ROCm/rocFFT kind=compiled arch=gfx906 opt=O3
	.text
	.amdgcn_target "amdgcn-amd-amdhsa--gfx906"
	.amdhsa_code_object_version 6
	.protected	fft_rtc_fwd_len1188_factors_6_11_2_3_3_wgs_198_tpt_66_halfLds_sp_ip_CI_unitstride_sbrr_R2C_dirReg ; -- Begin function fft_rtc_fwd_len1188_factors_6_11_2_3_3_wgs_198_tpt_66_halfLds_sp_ip_CI_unitstride_sbrr_R2C_dirReg
	.globl	fft_rtc_fwd_len1188_factors_6_11_2_3_3_wgs_198_tpt_66_halfLds_sp_ip_CI_unitstride_sbrr_R2C_dirReg
	.p2align	8
	.type	fft_rtc_fwd_len1188_factors_6_11_2_3_3_wgs_198_tpt_66_halfLds_sp_ip_CI_unitstride_sbrr_R2C_dirReg,@function
fft_rtc_fwd_len1188_factors_6_11_2_3_3_wgs_198_tpt_66_halfLds_sp_ip_CI_unitstride_sbrr_R2C_dirReg: ; @fft_rtc_fwd_len1188_factors_6_11_2_3_3_wgs_198_tpt_66_halfLds_sp_ip_CI_unitstride_sbrr_R2C_dirReg
; %bb.0:
	s_load_dwordx2 s[2:3], s[4:5], 0x50
	s_load_dwordx4 s[8:11], s[4:5], 0x0
	s_load_dwordx2 s[12:13], s[4:5], 0x18
	v_mul_u32_u24_e32 v1, 0x3e1, v0
	v_lshrrev_b32_e32 v1, 16, v1
	v_mad_u64_u32 v[1:2], s[0:1], s6, 3, v[1:2]
	v_mov_b32_e32 v5, 0
	s_waitcnt lgkmcnt(0)
	v_cmp_lt_u64_e64 s[0:1], s[10:11], 2
	v_mov_b32_e32 v2, v5
	v_mov_b32_e32 v3, 0
	;; [unrolled: 1-line block ×3, first 2 shown]
	s_and_b64 vcc, exec, s[0:1]
	v_mov_b32_e32 v4, 0
	v_mov_b32_e32 v9, v1
	s_cbranch_vccnz .LBB0_8
; %bb.1:
	s_load_dwordx2 s[0:1], s[4:5], 0x10
	s_add_u32 s6, s12, 8
	s_addc_u32 s7, s13, 0
	v_mov_b32_e32 v3, 0
	v_mov_b32_e32 v8, v2
	s_waitcnt lgkmcnt(0)
	s_add_u32 s16, s0, 8
	s_mov_b64 s[14:15], 1
	v_mov_b32_e32 v4, 0
	s_addc_u32 s17, s1, 0
	v_mov_b32_e32 v7, v1
.LBB0_2:                                ; =>This Inner Loop Header: Depth=1
	s_load_dwordx2 s[18:19], s[16:17], 0x0
                                        ; implicit-def: $vgpr9_vgpr10
	s_waitcnt lgkmcnt(0)
	v_or_b32_e32 v6, s19, v8
	v_cmp_ne_u64_e32 vcc, 0, v[5:6]
	s_and_saveexec_b64 s[0:1], vcc
	s_xor_b64 s[20:21], exec, s[0:1]
	s_cbranch_execz .LBB0_4
; %bb.3:                                ;   in Loop: Header=BB0_2 Depth=1
	v_cvt_f32_u32_e32 v2, s18
	v_cvt_f32_u32_e32 v6, s19
	s_sub_u32 s0, 0, s18
	s_subb_u32 s1, 0, s19
	v_mac_f32_e32 v2, 0x4f800000, v6
	v_rcp_f32_e32 v2, v2
	v_mul_f32_e32 v2, 0x5f7ffffc, v2
	v_mul_f32_e32 v6, 0x2f800000, v2
	v_trunc_f32_e32 v6, v6
	v_mac_f32_e32 v2, 0xcf800000, v6
	v_cvt_u32_f32_e32 v6, v6
	v_cvt_u32_f32_e32 v2, v2
	v_mul_lo_u32 v9, s0, v6
	v_mul_hi_u32 v10, s0, v2
	v_mul_lo_u32 v12, s1, v2
	v_mul_lo_u32 v11, s0, v2
	v_add_u32_e32 v9, v10, v9
	v_add_u32_e32 v9, v9, v12
	v_mul_hi_u32 v10, v2, v11
	v_mul_lo_u32 v12, v2, v9
	v_mul_hi_u32 v14, v2, v9
	v_mul_hi_u32 v13, v6, v11
	v_mul_lo_u32 v11, v6, v11
	v_mul_hi_u32 v15, v6, v9
	v_add_co_u32_e32 v10, vcc, v10, v12
	v_addc_co_u32_e32 v12, vcc, 0, v14, vcc
	v_mul_lo_u32 v9, v6, v9
	v_add_co_u32_e32 v10, vcc, v10, v11
	v_addc_co_u32_e32 v10, vcc, v12, v13, vcc
	v_addc_co_u32_e32 v11, vcc, 0, v15, vcc
	v_add_co_u32_e32 v9, vcc, v10, v9
	v_addc_co_u32_e32 v10, vcc, 0, v11, vcc
	v_add_co_u32_e32 v2, vcc, v2, v9
	v_addc_co_u32_e32 v6, vcc, v6, v10, vcc
	v_mul_lo_u32 v9, s0, v6
	v_mul_hi_u32 v10, s0, v2
	v_mul_lo_u32 v11, s1, v2
	v_mul_lo_u32 v12, s0, v2
	v_add_u32_e32 v9, v10, v9
	v_add_u32_e32 v9, v9, v11
	v_mul_lo_u32 v13, v2, v9
	v_mul_hi_u32 v14, v2, v12
	v_mul_hi_u32 v15, v2, v9
	;; [unrolled: 1-line block ×3, first 2 shown]
	v_mul_lo_u32 v12, v6, v12
	v_mul_hi_u32 v10, v6, v9
	v_add_co_u32_e32 v13, vcc, v14, v13
	v_addc_co_u32_e32 v14, vcc, 0, v15, vcc
	v_mul_lo_u32 v9, v6, v9
	v_add_co_u32_e32 v12, vcc, v13, v12
	v_addc_co_u32_e32 v11, vcc, v14, v11, vcc
	v_addc_co_u32_e32 v10, vcc, 0, v10, vcc
	v_add_co_u32_e32 v9, vcc, v11, v9
	v_addc_co_u32_e32 v10, vcc, 0, v10, vcc
	v_add_co_u32_e32 v2, vcc, v2, v9
	v_addc_co_u32_e32 v6, vcc, v6, v10, vcc
	v_mad_u64_u32 v[9:10], s[0:1], v7, v6, 0
	v_mul_hi_u32 v11, v7, v2
	v_add_co_u32_e32 v13, vcc, v11, v9
	v_addc_co_u32_e32 v14, vcc, 0, v10, vcc
	v_mad_u64_u32 v[9:10], s[0:1], v8, v2, 0
	v_mad_u64_u32 v[11:12], s[0:1], v8, v6, 0
	v_add_co_u32_e32 v2, vcc, v13, v9
	v_addc_co_u32_e32 v2, vcc, v14, v10, vcc
	v_addc_co_u32_e32 v6, vcc, 0, v12, vcc
	v_add_co_u32_e32 v2, vcc, v2, v11
	v_addc_co_u32_e32 v6, vcc, 0, v6, vcc
	v_mul_lo_u32 v11, s19, v2
	v_mul_lo_u32 v12, s18, v6
	v_mad_u64_u32 v[9:10], s[0:1], s18, v2, 0
	v_add3_u32 v10, v10, v12, v11
	v_sub_u32_e32 v11, v8, v10
	v_mov_b32_e32 v12, s19
	v_sub_co_u32_e32 v9, vcc, v7, v9
	v_subb_co_u32_e64 v11, s[0:1], v11, v12, vcc
	v_subrev_co_u32_e64 v12, s[0:1], s18, v9
	v_subbrev_co_u32_e64 v11, s[0:1], 0, v11, s[0:1]
	v_cmp_le_u32_e64 s[0:1], s19, v11
	v_cndmask_b32_e64 v13, 0, -1, s[0:1]
	v_cmp_le_u32_e64 s[0:1], s18, v12
	v_cndmask_b32_e64 v12, 0, -1, s[0:1]
	v_cmp_eq_u32_e64 s[0:1], s19, v11
	v_cndmask_b32_e64 v11, v13, v12, s[0:1]
	v_add_co_u32_e64 v12, s[0:1], 2, v2
	v_addc_co_u32_e64 v13, s[0:1], 0, v6, s[0:1]
	v_add_co_u32_e64 v14, s[0:1], 1, v2
	v_addc_co_u32_e64 v15, s[0:1], 0, v6, s[0:1]
	v_subb_co_u32_e32 v10, vcc, v8, v10, vcc
	v_cmp_ne_u32_e64 s[0:1], 0, v11
	v_cmp_le_u32_e32 vcc, s19, v10
	v_cndmask_b32_e64 v11, v15, v13, s[0:1]
	v_cndmask_b32_e64 v13, 0, -1, vcc
	v_cmp_le_u32_e32 vcc, s18, v9
	v_cndmask_b32_e64 v9, 0, -1, vcc
	v_cmp_eq_u32_e32 vcc, s19, v10
	v_cndmask_b32_e32 v9, v13, v9, vcc
	v_cmp_ne_u32_e32 vcc, 0, v9
	v_cndmask_b32_e32 v10, v6, v11, vcc
	v_cndmask_b32_e64 v6, v14, v12, s[0:1]
	v_cndmask_b32_e32 v9, v2, v6, vcc
.LBB0_4:                                ;   in Loop: Header=BB0_2 Depth=1
	s_andn2_saveexec_b64 s[0:1], s[20:21]
	s_cbranch_execz .LBB0_6
; %bb.5:                                ;   in Loop: Header=BB0_2 Depth=1
	v_cvt_f32_u32_e32 v2, s18
	s_sub_i32 s20, 0, s18
	v_rcp_iflag_f32_e32 v2, v2
	v_mul_f32_e32 v2, 0x4f7ffffe, v2
	v_cvt_u32_f32_e32 v2, v2
	v_mul_lo_u32 v6, s20, v2
	v_mul_hi_u32 v6, v2, v6
	v_add_u32_e32 v2, v2, v6
	v_mul_hi_u32 v2, v7, v2
	v_mul_lo_u32 v6, v2, s18
	v_add_u32_e32 v9, 1, v2
	v_sub_u32_e32 v6, v7, v6
	v_subrev_u32_e32 v10, s18, v6
	v_cmp_le_u32_e32 vcc, s18, v6
	v_cndmask_b32_e32 v6, v6, v10, vcc
	v_cndmask_b32_e32 v2, v2, v9, vcc
	v_add_u32_e32 v9, 1, v2
	v_cmp_le_u32_e32 vcc, s18, v6
	v_cndmask_b32_e32 v9, v2, v9, vcc
	v_mov_b32_e32 v10, v5
.LBB0_6:                                ;   in Loop: Header=BB0_2 Depth=1
	s_or_b64 exec, exec, s[0:1]
	v_mul_lo_u32 v2, v10, s18
	v_mul_lo_u32 v6, v9, s19
	v_mad_u64_u32 v[11:12], s[0:1], v9, s18, 0
	s_load_dwordx2 s[0:1], s[6:7], 0x0
	s_add_u32 s14, s14, 1
	v_add3_u32 v2, v12, v6, v2
	v_sub_co_u32_e32 v6, vcc, v7, v11
	v_subb_co_u32_e32 v2, vcc, v8, v2, vcc
	s_waitcnt lgkmcnt(0)
	v_mul_lo_u32 v2, s0, v2
	v_mul_lo_u32 v7, s1, v6
	v_mad_u64_u32 v[3:4], s[0:1], s0, v6, v[3:4]
	s_addc_u32 s15, s15, 0
	s_add_u32 s6, s6, 8
	v_add3_u32 v4, v7, v4, v2
	v_mov_b32_e32 v6, s10
	v_mov_b32_e32 v7, s11
	s_addc_u32 s7, s7, 0
	v_cmp_ge_u64_e32 vcc, s[14:15], v[6:7]
	s_add_u32 s16, s16, 8
	s_addc_u32 s17, s17, 0
	s_cbranch_vccnz .LBB0_8
; %bb.7:                                ;   in Loop: Header=BB0_2 Depth=1
	v_mov_b32_e32 v7, v9
	v_mov_b32_e32 v8, v10
	s_branch .LBB0_2
.LBB0_8:
	s_lshl_b64 s[0:1], s[10:11], 3
	s_add_u32 s0, s12, s0
	s_addc_u32 s1, s13, s1
	s_load_dwordx2 s[0:1], s[0:1], 0x0
	s_mov_b32 s6, 0xaaaaaaab
	v_mul_hi_u32 v5, v1, s6
	s_load_dwordx2 s[4:5], s[4:5], 0x20
                                        ; implicit-def: $vgpr46
                                        ; implicit-def: $vgpr44
	s_waitcnt lgkmcnt(0)
	v_mul_lo_u32 v6, s0, v10
	v_mul_lo_u32 v7, s1, v9
	v_mad_u64_u32 v[2:3], s[0:1], s0, v9, v[3:4]
	s_mov_b32 s0, 0x3e0f83f
	v_lshrrev_b32_e32 v4, 1, v5
	v_mul_hi_u32 v5, v0, s0
	v_lshl_add_u32 v4, v4, 1, v4
	v_sub_u32_e32 v1, v1, v4
	v_cmp_gt_u64_e64 s[0:1], s[4:5], v[9:10]
	v_cmp_le_u64_e32 vcc, s[4:5], v[9:10]
	v_mul_u32_u24_e32 v4, 0x42, v5
	v_add3_u32 v3, v7, v3, v6
	v_sub_u32_e32 v40, v0, v4
	s_and_saveexec_b64 s[4:5], vcc
	s_xor_b64 s[4:5], exec, s[4:5]
; %bb.9:
	v_add_u32_e32 v46, 0x42, v40
	v_add_u32_e32 v44, 0x84, v40
; %bb.10:
	s_or_saveexec_b64 s[4:5], s[4:5]
	v_mul_u32_u24_e32 v0, 0x4a5, v1
	v_lshlrev_b64 v[42:43], 3, v[2:3]
	v_lshlrev_b32_e32 v54, 3, v0
	v_lshlrev_b32_e32 v45, 3, v40
	s_xor_b64 exec, exec, s[4:5]
	s_cbranch_execz .LBB0_12
; %bb.11:
	v_mov_b32_e32 v41, 0
	v_mov_b32_e32 v0, s3
	v_add_co_u32_e32 v2, vcc, s2, v42
	v_addc_co_u32_e32 v3, vcc, v0, v43, vcc
	v_lshlrev_b64 v[0:1], 3, v[40:41]
	s_movk_i32 s6, 0x1000
	v_add_co_u32_e32 v0, vcc, v2, v0
	v_addc_co_u32_e32 v1, vcc, v3, v1, vcc
	v_add_co_u32_e32 v18, vcc, s6, v0
	v_addc_co_u32_e32 v19, vcc, 0, v1, vcc
	global_load_dwordx2 v[2:3], v[0:1], off
	global_load_dwordx2 v[4:5], v[0:1], off offset:528
	global_load_dwordx2 v[6:7], v[0:1], off offset:1056
	global_load_dwordx2 v[8:9], v[0:1], off offset:1584
	global_load_dwordx2 v[10:11], v[0:1], off offset:2112
	global_load_dwordx2 v[12:13], v[0:1], off offset:2640
	global_load_dwordx2 v[14:15], v[0:1], off offset:3168
	global_load_dwordx2 v[16:17], v[0:1], off offset:3696
	v_add_co_u32_e32 v0, vcc, 0x2000, v0
	global_load_dwordx2 v[20:21], v[18:19], off offset:128
	global_load_dwordx2 v[22:23], v[18:19], off offset:656
	;; [unrolled: 1-line block ×8, first 2 shown]
	v_addc_co_u32_e32 v1, vcc, 0, v1, vcc
	global_load_dwordx2 v[18:19], v[0:1], off offset:256
	global_load_dwordx2 v[36:37], v[0:1], off offset:784
	v_add3_u32 v0, 0, v54, v45
	v_add_u32_e32 v46, 0x42, v40
	v_add_u32_e32 v44, 0x84, v40
	;; [unrolled: 1-line block ×5, first 2 shown]
	s_waitcnt vmcnt(16)
	ds_write2_b64 v0, v[2:3], v[4:5] offset1:66
	s_waitcnt vmcnt(14)
	ds_write2_b64 v0, v[6:7], v[8:9] offset0:132 offset1:198
	s_waitcnt vmcnt(12)
	ds_write2_b64 v1, v[10:11], v[12:13] offset0:8 offset1:74
	;; [unrolled: 2-line block ×7, first 2 shown]
	v_add_u32_e32 v0, 0x2000, v0
	s_waitcnt vmcnt(0)
	ds_write2_b64 v0, v[18:19], v[36:37] offset0:32 offset1:98
.LBB0_12:
	s_or_b64 exec, exec, s[4:5]
	v_add_u32_e32 v0, 0, v45
	v_add_u32_e32 v52, 0, v54
	;; [unrolled: 1-line block ×5, first 2 shown]
	s_waitcnt lgkmcnt(0)
	s_barrier
	ds_read2_b64 v[0:3], v12 offset0:74 offset1:140
	v_add_u32_e32 v34, 0x1400, v53
	ds_read_b64 v[30:31], v51
	ds_read_b64 v[32:33], v53 offset:8976
	ds_read2_b64 v[4:7], v34 offset0:86 offset1:152
	v_add_u32_e32 v13, 0x1000, v53
	v_add_u32_e32 v14, 0x400, v53
	;; [unrolled: 1-line block ×3, first 2 shown]
	ds_read2_b64 v[8:11], v13 offset0:82 offset1:148
	ds_read2_b64 v[15:18], v35 offset0:94 offset1:160
	;; [unrolled: 1-line block ×3, first 2 shown]
	s_waitcnt lgkmcnt(3)
	v_add_f32_e32 v24, v3, v7
	v_add_f32_e32 v23, v31, v3
	v_fmac_f32_e32 v31, -0.5, v24
	s_waitcnt lgkmcnt(1)
	v_add_f32_e32 v25, v9, v16
	v_add_f32_e32 v24, v8, v15
	s_waitcnt lgkmcnt(0)
	v_fma_f32 v38, -0.5, v25, v20
	v_fma_f32 v36, -0.5, v24, v19
	v_sub_f32_e32 v39, v8, v15
	v_mov_b32_e32 v25, v38
	v_sub_f32_e32 v37, v9, v16
	v_mov_b32_e32 v24, v36
	v_fmac_f32_e32 v25, 0xbf5db3d7, v39
	v_fmac_f32_e32 v24, 0x3f5db3d7, v37
	v_mul_f32_e32 v41, 0x3f5db3d7, v25
	v_fmac_f32_e32 v41, 0.5, v24
	v_mul_f32_e32 v47, 0xbf5db3d7, v24
	v_add_f32_e32 v24, v30, v2
	v_add_f32_e32 v48, v24, v6
	v_add_f32_e32 v24, v2, v6
	v_fma_f32 v49, -0.5, v24, v30
	v_sub_f32_e32 v57, v2, v6
	v_add_f32_e32 v2, v19, v8
	v_sub_f32_e32 v50, v3, v7
	v_mov_b32_e32 v55, v49
	v_mov_b32_e32 v58, v31
	v_add_f32_e32 v15, v2, v15
	v_add_f32_e32 v2, v20, v9
	v_fmac_f32_e32 v47, 0.5, v25
	v_fmac_f32_e32 v55, 0x3f5db3d7, v50
	v_add_f32_e32 v56, v23, v7
	v_fmac_f32_e32 v58, 0xbf5db3d7, v57
	v_add_f32_e32 v59, v2, v16
	v_mul_u32_u24_e32 v60, 6, v40
	v_add_f32_e32 v2, v48, v15
	v_add_f32_e32 v3, v56, v59
	;; [unrolled: 1-line block ×4, first 2 shown]
	v_add_u32_e32 v6, 0xc00, v53
	v_lshl_add_u32 v60, v60, 3, v52
	v_fmac_f32_e32 v36, 0xbf5db3d7, v37
	v_fmac_f32_e32 v38, 0x3f5db3d7, v39
	v_add_u32_e32 v16, 0x1800, v53
	ds_read2_b64 v[6:9], v6 offset0:78 offset1:144
	ds_read2_b64 v[23:26], v53 offset0:66 offset1:132
	;; [unrolled: 1-line block ×3, first 2 shown]
	s_waitcnt lgkmcnt(0)
	s_barrier
	ds_write2_b64 v60, v[2:3], v[19:20] offset1:1
	v_sub_f32_e32 v2, v48, v15
	v_mul_f32_e32 v15, -0.5, v36
	v_mul_f32_e32 v37, -0.5, v38
	v_fmac_f32_e32 v49, 0xbf5db3d7, v50
	v_fmac_f32_e32 v31, 0x3f5db3d7, v57
	;; [unrolled: 1-line block ×4, first 2 shown]
	v_sub_f32_e32 v3, v56, v59
	v_add_f32_e32 v19, v49, v15
	v_add_f32_e32 v20, v31, v37
	ds_write2_b64 v60, v[19:20], v[2:3] offset0:2 offset1:3
	v_sub_f32_e32 v3, v31, v37
	v_sub_f32_e32 v2, v49, v15
	;; [unrolled: 1-line block ×4, first 2 shown]
	ds_write2_b64 v60, v[19:20], v[2:3] offset0:4 offset1:5
	v_add_f32_e32 v2, v21, v10
	v_add_f32_e32 v3, v10, v17
	v_sub_f32_e32 v15, v11, v18
	v_add_f32_e32 v19, v22, v11
	v_add_f32_e32 v11, v11, v18
	v_sub_f32_e32 v10, v10, v17
	v_add_f32_e32 v17, v2, v17
	v_add_f32_e32 v2, v23, v6
	v_fmac_f32_e32 v22, -0.5, v11
	v_fma_f32 v11, -0.5, v3, v21
	v_add_f32_e32 v18, v19, v18
	v_add_f32_e32 v19, v6, v27
	v_sub_f32_e32 v20, v7, v28
	v_add_f32_e32 v31, v24, v7
	v_add_f32_e32 v7, v7, v28
	v_sub_f32_e32 v36, v6, v27
	;; [unrolled: 3-line block ×3, first 2 shown]
	v_add_f32_e32 v8, v2, v27
	v_mov_b32_e32 v2, v11
	v_mov_b32_e32 v3, v22
	v_add_f32_e32 v39, v26, v9
	v_fmac_f32_e32 v2, 0x3f5db3d7, v15
	v_fmac_f32_e32 v3, 0xbf5db3d7, v10
	v_fma_f32 v19, -0.5, v19, v23
	v_fma_f32 v24, -0.5, v7, v24
	v_sub_f32_e32 v38, v9, v30
	v_add_f32_e32 v9, v9, v30
	v_add_f32_e32 v27, v31, v28
	;; [unrolled: 1-line block ×4, first 2 shown]
	v_mul_f32_e32 v21, 0x3f5db3d7, v3
	v_mul_f32_e32 v30, 0xbf5db3d7, v2
	v_mov_b32_e32 v23, v19
	v_mov_b32_e32 v31, v24
	v_fmac_f32_e32 v11, 0xbf5db3d7, v15
	v_fmac_f32_e32 v22, 0x3f5db3d7, v10
	v_fmac_f32_e32 v21, 0.5, v2
	v_fmac_f32_e32 v30, 0.5, v3
	v_fmac_f32_e32 v23, 0x3f5db3d7, v20
	v_fmac_f32_e32 v31, 0xbf5db3d7, v36
	v_mul_i32_i24_e32 v39, 6, v46
	v_mul_f32_e32 v10, -0.5, v11
	v_mul_f32_e32 v15, -0.5, v22
	v_add_f32_e32 v2, v8, v17
	v_add_f32_e32 v3, v27, v18
	;; [unrolled: 1-line block ×4, first 2 shown]
	v_lshl_add_u32 v39, v39, 3, v52
	v_fmac_f32_e32 v10, 0x3f5db3d7, v22
	v_fmac_f32_e32 v19, 0xbf5db3d7, v20
	v_fmac_f32_e32 v24, 0x3f5db3d7, v36
	v_fmac_f32_e32 v15, 0xbf5db3d7, v11
	ds_write2_b64 v39, v[2:3], v[6:7] offset1:1
	v_sub_f32_e32 v2, v8, v17
	v_sub_f32_e32 v3, v27, v18
	v_add_f32_e32 v6, v19, v10
	v_add_f32_e32 v7, v24, v15
	ds_write2_b64 v39, v[6:7], v[2:3] offset0:2 offset1:3
	v_sub_f32_e32 v6, v5, v33
	v_add_f32_e32 v7, v1, v5
	v_add_f32_e32 v5, v5, v33
	;; [unrolled: 1-line block ×4, first 2 shown]
	v_sub_f32_e32 v4, v4, v32
	v_fmac_f32_e32 v1, -0.5, v5
	v_fma_f32 v3, -0.5, v3, v0
	v_mov_b32_e32 v11, v1
	v_fmac_f32_e32 v1, 0x3f5db3d7, v4
	v_mov_b32_e32 v5, v3
	v_fmac_f32_e32 v3, 0xbf5db3d7, v6
	v_mul_f32_e32 v8, -0.5, v1
	v_mul_f32_e32 v17, -0.5, v3
	v_fmac_f32_e32 v11, 0xbf5db3d7, v4
	v_fmac_f32_e32 v8, 0xbf5db3d7, v3
	v_fma_f32 v3, -0.5, v37, v25
	v_fmac_f32_e32 v17, 0x3f5db3d7, v1
	v_sub_f32_e32 v0, v23, v21
	v_sub_f32_e32 v1, v31, v30
	;; [unrolled: 1-line block ×4, first 2 shown]
	v_fmac_f32_e32 v26, -0.5, v9
	v_fmac_f32_e32 v5, 0x3f5db3d7, v6
	v_mov_b32_e32 v4, v3
	v_mul_f32_e32 v6, 0x3f5db3d7, v11
	ds_write2_b64 v39, v[0:1], v[47:48] offset0:4 offset1:5
	v_add_f32_e32 v0, v2, v32
	v_add_f32_e32 v15, v7, v33
	v_mov_b32_e32 v18, v26
	v_fmac_f32_e32 v26, 0x3f5db3d7, v41
	v_fmac_f32_e32 v4, 0x3f5db3d7, v38
	v_fmac_f32_e32 v6, 0.5, v5
	v_fmac_f32_e32 v3, 0xbf5db3d7, v38
	v_mul_f32_e32 v5, 0xbf5db3d7, v5
	v_add_f32_e32 v1, v26, v8
	v_sub_f32_e32 v7, v26, v8
	v_sub_f32_e32 v2, v28, v0
	v_add_f32_e32 v8, v28, v0
	v_add_f32_e32 v10, v4, v6
	v_sub_f32_e32 v4, v4, v6
	v_add_f32_e32 v0, v3, v17
	v_sub_f32_e32 v6, v3, v17
	;; [unrolled: 2-line block ×3, first 2 shown]
	v_fmac_f32_e32 v18, 0xbf5db3d7, v41
	v_fmac_f32_e32 v5, 0.5, v11
	v_mul_i32_i24_e32 v15, 6, v44
	v_add_f32_e32 v11, v18, v5
	v_lshl_add_u32 v15, v15, 3, v52
	v_sub_f32_e32 v5, v18, v5
	ds_write2_b64 v15, v[8:9], v[10:11] offset1:1
	ds_write2_b64 v15, v[0:1], v[2:3] offset0:2 offset1:3
	ds_write2_b64 v15, v[4:5], v[6:7] offset0:4 offset1:5
	s_waitcnt lgkmcnt(0)
	s_barrier
	ds_read_b64 v[49:50], v51
	ds_read2_b64 v[24:27], v34 offset0:116 offset1:224
	ds_read2_b64 v[20:23], v35 offset0:76 offset1:184
	;; [unrolled: 1-line block ×5, first 2 shown]
	v_cmp_gt_u32_e32 vcc, 42, v40
	v_lshlrev_b32_e32 v55, 3, v46
                                        ; implicit-def: $vgpr19
                                        ; implicit-def: $vgpr15
	s_and_saveexec_b64 s[4:5], vcc
	s_cbranch_execz .LBB0_14
; %bb.13:
	v_add3_u32 v0, 0, v55, v54
	ds_read_b64 v[47:48], v0
	ds_read2_b64 v[8:11], v14 offset0:46 offset1:154
	ds_read2_b64 v[0:3], v12 offset0:134 offset1:242
	;; [unrolled: 1-line block ×4, first 2 shown]
	v_add_u32_e32 v16, 0x2000, v53
	ds_read2_b64 v[16:19], v16 offset0:14 offset1:122
.LBB0_14:
	s_or_b64 exec, exec, s[4:5]
	s_movk_i32 s13, 0xab
	v_mul_lo_u16_sdwa v41, v40, s13 dst_sel:DWORD dst_unused:UNUSED_PAD src0_sel:BYTE_0 src1_sel:DWORD
	v_lshrrev_b16_e32 v56, 10, v41
	v_mul_lo_u16_e32 v41, 6, v56
	v_sub_u16_e32 v57, v40, v41
	v_mov_b32_e32 v41, 10
	v_mul_u32_u24_sdwa v58, v57, v41 dst_sel:DWORD dst_unused:UNUSED_PAD src0_sel:BYTE_0 src1_sel:DWORD
	v_lshlrev_b32_e32 v78, 3, v58
	global_load_dwordx4 v[58:61], v78, s[8:9]
	global_load_dwordx4 v[62:65], v78, s[8:9] offset:16
	global_load_dwordx4 v[66:69], v78, s[8:9] offset:32
	;; [unrolled: 1-line block ×4, first 2 shown]
	s_mov_b32 s7, 0x3ed4b147
	s_mov_b32 s6, 0x3f575c64
	;; [unrolled: 1-line block ×5, first 2 shown]
	s_movk_i32 s14, 0x210
	s_waitcnt vmcnt(0) lgkmcnt(0)
	s_barrier
	v_mul_f32_e32 v78, v59, v37
	v_mul_f32_e32 v59, v59, v36
	;; [unrolled: 1-line block ×8, first 2 shown]
	v_fma_f32 v36, v58, v36, -v78
	v_fmac_f32_e32 v59, v58, v37
	v_mul_f32_e32 v80, v63, v33
	v_mul_f32_e32 v63, v63, v32
	v_fma_f32 v37, v60, v38, -v79
	v_fmac_f32_e32 v61, v60, v39
	v_fmac_f32_e32 v75, v21, v74
	v_fma_f32 v21, v22, v76, -v87
	v_fmac_f32_e32 v77, v23, v76
	v_add_f32_e32 v22, v36, v49
	v_add_f32_e32 v23, v59, v50
	v_mul_f32_e32 v81, v65, v35
	v_mul_f32_e32 v65, v65, v34
	v_fma_f32 v32, v62, v32, -v80
	v_fmac_f32_e32 v63, v62, v33
	v_add_f32_e32 v22, v22, v37
	v_add_f32_e32 v23, v23, v61
	v_mul_f32_e32 v82, v67, v29
	v_mul_f32_e32 v67, v67, v28
	v_fma_f32 v33, v64, v34, -v81
	v_fmac_f32_e32 v65, v64, v35
	v_add_f32_e32 v22, v22, v32
	v_add_f32_e32 v23, v23, v63
	v_mul_f32_e32 v83, v69, v31
	v_mul_f32_e32 v69, v69, v30
	v_fma_f32 v28, v66, v28, -v82
	v_fmac_f32_e32 v67, v66, v29
	v_add_f32_e32 v22, v22, v33
	v_add_f32_e32 v23, v23, v65
	v_mul_f32_e32 v84, v71, v25
	v_mul_f32_e32 v71, v71, v24
	v_fma_f32 v29, v68, v30, -v83
	v_fmac_f32_e32 v69, v68, v31
	v_add_f32_e32 v22, v22, v28
	v_add_f32_e32 v23, v23, v67
	v_mul_f32_e32 v85, v73, v27
	v_mul_f32_e32 v73, v73, v26
	v_fma_f32 v24, v70, v24, -v84
	v_fmac_f32_e32 v71, v70, v25
	v_add_f32_e32 v22, v22, v29
	v_add_f32_e32 v23, v23, v69
	v_fma_f32 v25, v72, v26, -v85
	v_fmac_f32_e32 v73, v72, v27
	v_add_f32_e32 v22, v22, v24
	v_add_f32_e32 v23, v23, v71
	v_fma_f32 v20, v20, v74, -v86
	v_sub_f32_e32 v30, v36, v21
	v_add_f32_e32 v22, v22, v25
	v_add_f32_e32 v23, v23, v73
	;; [unrolled: 1-line block ×3, first 2 shown]
	v_sub_f32_e32 v31, v59, v77
	v_mul_f32_e32 v35, 0xbf0a6770, v30
	v_mul_f32_e32 v38, 0xbf68dda4, v30
	v_add_f32_e32 v22, v22, v20
	v_add_f32_e32 v23, v23, v75
	v_mul_f32_e32 v64, 0xbf7d64f0, v30
	v_mul_f32_e32 v72, 0xbf4178ce, v30
	;; [unrolled: 1-line block ×3, first 2 shown]
	v_add_f32_e32 v26, v36, v21
	v_mul_f32_e32 v34, 0xbf0a6770, v31
	v_mul_f32_e32 v36, 0xbf68dda4, v31
	v_mov_b32_e32 v58, v35
	v_mov_b32_e32 v60, v38
	v_add_f32_e32 v21, v22, v21
	v_add_f32_e32 v22, v23, v77
	v_fma_f32 v23, v27, s7, -v38
	v_mul_f32_e32 v38, 0xbf7d64f0, v31
	v_mov_b32_e32 v66, v64
	v_mul_f32_e32 v68, 0xbf4178ce, v31
	v_mov_b32_e32 v74, v72
	;; [unrolled: 2-line block ×3, first 2 shown]
	v_fma_f32 v39, v26, s6, -v34
	v_fmac_f32_e32 v34, 0x3f575c64, v26
	v_fma_f32 v35, v27, s6, -v35
	v_fma_f32 v59, v26, s7, -v36
	v_fmac_f32_e32 v36, 0x3ed4b147, v26
	v_fmac_f32_e32 v58, 0x3f575c64, v27
	;; [unrolled: 1-line block ×3, first 2 shown]
	v_fma_f32 v62, v26, s10, -v38
	v_fmac_f32_e32 v66, 0xbe11bafb, v27
	v_fmac_f32_e32 v38, 0xbe11bafb, v26
	v_fma_f32 v64, v27, s10, -v64
	v_fma_f32 v70, v26, s11, -v68
	v_fmac_f32_e32 v74, 0xbf27a4f4, v27
	v_fmac_f32_e32 v68, 0xbf27a4f4, v26
	v_fma_f32 v72, v27, s11, -v72
	;; [unrolled: 4-line block ×3, first 2 shown]
	v_add_f32_e32 v30, v37, v20
	v_sub_f32_e32 v20, v37, v20
	v_sub_f32_e32 v37, v61, v75
	v_add_f32_e32 v39, v39, v49
	v_add_f32_e32 v34, v34, v49
	;; [unrolled: 1-line block ×10, first 2 shown]
	v_mul_f32_e32 v49, 0xbf68dda4, v37
	v_add_f32_e32 v35, v35, v50
	v_add_f32_e32 v58, v58, v50
	;; [unrolled: 1-line block ×10, first 2 shown]
	v_fma_f32 v50, v30, s7, -v49
	v_add_f32_e32 v31, v61, v75
	v_add_f32_e32 v39, v50, v39
	v_mul_f32_e32 v50, 0xbf68dda4, v20
	v_fmac_f32_e32 v49, 0x3ed4b147, v30
	v_add_f32_e32 v34, v49, v34
	v_fma_f32 v49, v31, s7, -v50
	v_add_f32_e32 v35, v49, v35
	v_mul_f32_e32 v49, 0xbf4178ce, v37
	v_mov_b32_e32 v61, v50
	v_fma_f32 v50, v30, s11, -v49
	v_fmac_f32_e32 v61, 0x3ed4b147, v31
	v_add_f32_e32 v50, v50, v59
	v_mul_f32_e32 v59, 0xbf4178ce, v20
	v_fmac_f32_e32 v49, 0xbf27a4f4, v30
	v_add_f32_e32 v58, v61, v58
	v_mov_b32_e32 v61, v59
	v_add_f32_e32 v36, v49, v36
	v_fma_f32 v49, v31, s11, -v59
	v_fmac_f32_e32 v61, 0xbf27a4f4, v31
	v_add_f32_e32 v23, v49, v23
	v_mul_f32_e32 v49, 0x3e903f40, v37
	v_add_f32_e32 v60, v61, v60
	v_fma_f32 v59, v30, s12, -v49
	v_mul_f32_e32 v61, 0x3e903f40, v20
	v_add_f32_e32 v59, v59, v62
	v_mov_b32_e32 v62, v61
	v_fmac_f32_e32 v49, 0xbf75a155, v30
	v_fmac_f32_e32 v62, 0xbf75a155, v31
	v_add_f32_e32 v38, v49, v38
	v_fma_f32 v49, v31, s12, -v61
	v_mul_f32_e32 v61, 0x3f7d64f0, v37
	v_add_f32_e32 v62, v62, v66
	v_add_f32_e32 v49, v49, v64
	v_fma_f32 v64, v30, s10, -v61
	v_mul_f32_e32 v66, 0x3f7d64f0, v20
	v_add_f32_e32 v64, v64, v70
	v_mov_b32_e32 v70, v66
	v_fma_f32 v66, v31, s10, -v66
	v_mul_f32_e32 v20, 0x3f0a6770, v20
	v_add_f32_e32 v66, v66, v72
	v_mov_b32_e32 v72, v20
	v_fmac_f32_e32 v70, 0xbe11bafb, v31
	v_fmac_f32_e32 v61, 0xbe11bafb, v30
	v_mul_f32_e32 v37, 0x3f0a6770, v37
	v_fmac_f32_e32 v72, 0x3f575c64, v31
	v_fma_f32 v20, v31, s6, -v20
	v_sub_f32_e32 v31, v63, v73
	v_add_f32_e32 v61, v61, v68
	v_fma_f32 v68, v30, s6, -v37
	v_fmac_f32_e32 v37, 0x3f575c64, v30
	v_add_f32_e32 v20, v20, v27
	v_add_f32_e32 v27, v32, v25
	v_sub_f32_e32 v25, v32, v25
	v_mul_f32_e32 v32, 0xbf7d64f0, v31
	v_add_f32_e32 v26, v37, v26
	v_fma_f32 v37, v27, s10, -v32
	v_add_f32_e32 v30, v63, v73
	v_add_f32_e32 v37, v37, v39
	v_mul_f32_e32 v39, 0xbf7d64f0, v25
	v_fmac_f32_e32 v32, 0xbe11bafb, v27
	v_add_f32_e32 v32, v32, v34
	v_fma_f32 v34, v30, s10, -v39
	v_add_f32_e32 v34, v34, v35
	v_mul_f32_e32 v35, 0x3e903f40, v31
	v_mov_b32_e32 v63, v39
	v_fma_f32 v39, v27, s12, -v35
	v_add_f32_e32 v39, v39, v50
	v_mul_f32_e32 v50, 0x3e903f40, v25
	v_fmac_f32_e32 v35, 0xbf75a155, v27
	v_add_f32_e32 v35, v35, v36
	v_fma_f32 v36, v30, s12, -v50
	v_fmac_f32_e32 v63, 0xbe11bafb, v30
	v_add_f32_e32 v23, v36, v23
	v_mul_f32_e32 v36, 0x3f68dda4, v31
	v_add_f32_e32 v58, v63, v58
	v_mov_b32_e32 v63, v50
	v_fma_f32 v50, v27, s7, -v36
	v_fmac_f32_e32 v63, 0xbf75a155, v30
	v_add_f32_e32 v50, v50, v59
	v_mul_f32_e32 v59, 0x3f68dda4, v25
	v_fmac_f32_e32 v36, 0x3ed4b147, v27
	v_add_f32_e32 v60, v63, v60
	v_mov_b32_e32 v63, v59
	v_add_f32_e32 v36, v36, v38
	v_fma_f32 v38, v30, s7, -v59
	v_fmac_f32_e32 v63, 0x3ed4b147, v30
	v_add_f32_e32 v38, v38, v49
	v_mul_f32_e32 v49, 0xbf0a6770, v31
	v_add_f32_e32 v62, v63, v62
	v_fma_f32 v59, v27, s6, -v49
	v_mul_f32_e32 v63, 0xbf0a6770, v25
	v_fmac_f32_e32 v49, 0x3f575c64, v27
	v_add_f32_e32 v49, v49, v61
	v_fma_f32 v61, v30, s6, -v63
	v_mul_f32_e32 v25, 0xbf4178ce, v25
	v_add_f32_e32 v59, v59, v64
	v_mov_b32_e32 v64, v63
	v_add_f32_e32 v61, v61, v66
	v_mul_f32_e32 v31, 0xbf4178ce, v31
	v_mov_b32_e32 v66, v25
	v_fmac_f32_e32 v64, 0x3f575c64, v30
	v_fma_f32 v63, v27, s11, -v31
	v_fmac_f32_e32 v66, 0xbf27a4f4, v30
	v_fmac_f32_e32 v31, 0xbf27a4f4, v27
	v_fma_f32 v25, v30, s11, -v25
	v_sub_f32_e32 v30, v65, v71
	v_add_f32_e32 v26, v31, v26
	v_add_f32_e32 v20, v25, v20
	;; [unrolled: 1-line block ×3, first 2 shown]
	v_mul_f32_e32 v31, 0xbf4178ce, v30
	v_sub_f32_e32 v24, v33, v24
	v_fma_f32 v33, v25, s11, -v31
	v_add_f32_e32 v27, v65, v71
	v_add_f32_e32 v33, v33, v37
	v_mul_f32_e32 v37, 0xbf4178ce, v24
	v_fmac_f32_e32 v31, 0xbf27a4f4, v25
	v_add_f32_e32 v31, v31, v32
	v_fma_f32 v32, v27, s11, -v37
	v_add_f32_e32 v32, v32, v34
	v_mul_f32_e32 v34, 0x3f7d64f0, v30
	v_mov_b32_e32 v65, v37
	v_fma_f32 v37, v25, s10, -v34
	v_add_f32_e32 v37, v37, v39
	v_mul_f32_e32 v39, 0x3f7d64f0, v24
	v_fmac_f32_e32 v34, 0xbe11bafb, v25
	v_add_f32_e32 v34, v34, v35
	v_fma_f32 v35, v27, s10, -v39
	v_fmac_f32_e32 v65, 0xbf27a4f4, v27
	v_add_f32_e32 v35, v35, v23
	v_mul_f32_e32 v23, 0xbf0a6770, v30
	v_add_f32_e32 v58, v65, v58
	v_mov_b32_e32 v65, v39
	v_fma_f32 v39, v25, s6, -v23
	v_add_f32_e32 v39, v39, v50
	v_mul_f32_e32 v50, 0xbf0a6770, v24
	v_fmac_f32_e32 v23, 0x3f575c64, v25
	v_add_f32_e32 v36, v23, v36
	v_fma_f32 v23, v27, s6, -v50
	v_fmac_f32_e32 v65, 0xbe11bafb, v27
	v_add_f32_e32 v38, v23, v38
	v_mul_f32_e32 v23, 0xbe903f40, v30
	v_add_f32_e32 v60, v65, v60
	v_mov_b32_e32 v65, v50
	v_fma_f32 v50, v25, s12, -v23
	v_add_f32_e32 v50, v50, v59
	v_mul_f32_e32 v59, 0xbe903f40, v24
	v_fmac_f32_e32 v23, 0xbf75a155, v25
	v_fmac_f32_e32 v65, 0x3f575c64, v27
	v_add_f32_e32 v49, v23, v49
	v_fma_f32 v23, v27, s12, -v59
	v_add_f32_e32 v68, v68, v76
	v_add_f32_e32 v62, v65, v62
	v_mov_b32_e32 v65, v59
	v_add_f32_e32 v59, v23, v61
	v_mul_f32_e32 v23, 0x3f68dda4, v30
	v_add_f32_e32 v63, v63, v68
	v_fma_f32 v30, v25, s7, -v23
	v_mul_f32_e32 v24, 0x3f68dda4, v24
	v_add_f32_e32 v72, v72, v77
	v_add_f32_e32 v61, v30, v63
	v_mov_b32_e32 v30, v24
	v_add_f32_e32 v70, v70, v74
	v_add_f32_e32 v66, v66, v72
	v_fmac_f32_e32 v30, 0x3ed4b147, v27
	v_add_f32_e32 v68, v67, v69
	v_sub_f32_e32 v67, v67, v69
	v_add_f32_e32 v64, v64, v70
	v_fmac_f32_e32 v65, 0xbf75a155, v27
	v_add_f32_e32 v63, v30, v66
	v_fmac_f32_e32 v23, 0x3ed4b147, v25
	v_add_f32_e32 v66, v28, v29
	v_sub_f32_e32 v70, v28, v29
	v_mul_f32_e32 v29, 0x3f0a6770, v67
	v_add_f32_e32 v64, v65, v64
	v_add_f32_e32 v65, v23, v26
	v_fma_f32 v23, v27, s7, -v24
	v_mul_f32_e32 v25, 0xbe903f40, v67
	v_mul_f32_e32 v26, 0xbe903f40, v70
	v_fma_f32 v27, v66, s6, -v29
	v_fmac_f32_e32 v29, 0x3f575c64, v66
	v_add_f32_e32 v20, v23, v20
	v_fma_f32 v23, v66, s12, -v25
	v_mov_b32_e32 v24, v26
	v_fma_f32 v26, v68, s12, -v26
	v_add_f32_e32 v29, v29, v34
	v_mul_f32_e32 v34, 0xbf4178ce, v70
	v_add_f32_e32 v23, v23, v33
	v_fmac_f32_e32 v25, 0xbf75a155, v66
	v_add_f32_e32 v26, v26, v32
	v_mul_f32_e32 v30, 0x3f0a6770, v70
	v_mul_f32_e32 v33, 0xbf4178ce, v67
	v_mov_b32_e32 v32, v34
	v_fma_f32 v34, v68, s11, -v34
	v_add_f32_e32 v25, v25, v31
	v_add_f32_e32 v27, v27, v37
	v_mov_b32_e32 v28, v30
	v_fma_f32 v30, v68, s6, -v30
	v_fma_f32 v31, v66, s11, -v33
	v_fmac_f32_e32 v33, 0xbf27a4f4, v66
	v_add_f32_e32 v34, v34, v38
	v_mul_f32_e32 v37, 0x3f68dda4, v67
	v_mul_f32_e32 v38, 0x3f68dda4, v70
	v_add_f32_e32 v30, v30, v35
	v_add_f32_e32 v31, v31, v39
	;; [unrolled: 1-line block ×3, first 2 shown]
	v_fma_f32 v35, v66, s7, -v37
	v_mov_b32_e32 v36, v38
	v_fmac_f32_e32 v37, 0x3ed4b147, v66
	v_fma_f32 v38, v68, s7, -v38
	v_mul_f32_e32 v39, 0xbf7d64f0, v67
	v_fmac_f32_e32 v24, 0xbf75a155, v68
	v_add_f32_e32 v37, v37, v49
	v_add_f32_e32 v38, v38, v59
	v_fma_f32 v49, v66, s10, -v39
	v_mul_f32_e32 v59, 0xbf7d64f0, v70
	v_fmac_f32_e32 v39, 0xbe11bafb, v66
	v_add_f32_e32 v24, v24, v58
	v_add_f32_e32 v58, v39, v65
	v_fma_f32 v39, v68, s10, -v59
	v_add_f32_e32 v35, v35, v50
	v_mov_b32_e32 v50, v59
	v_add_f32_e32 v59, v39, v20
	v_mov_b32_e32 v20, 3
	v_mad_u32_u24 v39, v56, s14, 0
	v_lshlrev_b32_sdwa v56, v20, v57 dst_sel:DWORD dst_unused:UNUSED_PAD src0_sel:DWORD src1_sel:BYTE_0
	v_fmac_f32_e32 v28, 0x3f575c64, v68
	v_fmac_f32_e32 v32, 0xbf27a4f4, v68
	;; [unrolled: 1-line block ×4, first 2 shown]
	v_add3_u32 v39, v39, v56, v54
	v_add_f32_e32 v28, v28, v60
	v_add_f32_e32 v32, v32, v62
	;; [unrolled: 1-line block ×5, first 2 shown]
	ds_write2_b64 v39, v[21:22], v[23:24] offset1:6
	ds_write2_b64 v39, v[27:28], v[31:32] offset0:12 offset1:18
	ds_write2_b64 v39, v[35:36], v[49:50] offset0:24 offset1:30
	;; [unrolled: 1-line block ×4, first 2 shown]
	ds_write_b64 v39, v[25:26] offset:480
	s_and_saveexec_b64 s[4:5], vcc
	s_cbranch_execz .LBB0_16
; %bb.15:
	v_mul_lo_u16_sdwa v21, v46, s13 dst_sel:DWORD dst_unused:UNUSED_PAD src0_sel:BYTE_0 src1_sel:DWORD
	v_lshrrev_b16_e32 v37, 10, v21
	v_mul_lo_u16_e32 v21, 6, v37
	v_sub_u16_e32 v38, v46, v21
	v_mul_u32_u24_sdwa v21, v38, v41 dst_sel:DWORD dst_unused:UNUSED_PAD src0_sel:BYTE_0 src1_sel:DWORD
	v_lshlrev_b32_e32 v39, 3, v21
	global_load_dwordx4 v[21:24], v39, s[8:9]
	global_load_dwordx4 v[25:28], v39, s[8:9] offset:64
	global_load_dwordx4 v[29:32], v39, s[8:9] offset:16
	;; [unrolled: 1-line block ×4, first 2 shown]
	s_waitcnt vmcnt(4)
	v_mul_f32_e32 v39, v9, v22
	s_waitcnt vmcnt(3)
	v_mul_f32_e32 v41, v19, v28
	v_mul_f32_e32 v28, v18, v28
	;; [unrolled: 1-line block ×4, first 2 shown]
	v_fma_f32 v39, v8, v21, -v39
	v_fma_f32 v18, v18, v27, -v41
	v_mul_f32_e32 v22, v8, v22
	v_mul_f32_e32 v26, v16, v26
	;; [unrolled: 1-line block ×3, first 2 shown]
	s_waitcnt vmcnt(2)
	v_mul_f32_e32 v60, v1, v30
	s_waitcnt vmcnt(1)
	v_mul_f32_e32 v61, v15, v36
	v_fma_f32 v10, v10, v23, -v49
	v_fma_f32 v16, v16, v25, -v50
	v_sub_f32_e32 v8, v39, v18
	v_mul_f32_e32 v36, v14, v36
	v_mul_f32_e32 v62, v3, v32
	;; [unrolled: 1-line block ×3, first 2 shown]
	v_fmac_f32_e32 v28, v19, v27
	v_fmac_f32_e32 v22, v9, v21
	;; [unrolled: 1-line block ×3, first 2 shown]
	v_fma_f32 v11, v0, v29, -v60
	v_fma_f32 v14, v14, v35, -v61
	v_sub_f32_e32 v9, v10, v16
	v_mul_f32_e32 v61, 0xbe903f40, v8
	v_mul_f32_e32 v30, v0, v30
	;; [unrolled: 1-line block ×3, first 2 shown]
	s_waitcnt vmcnt(0)
	v_mul_f32_e32 v64, v5, v57
	v_mul_f32_e32 v65, v7, v59
	v_fmac_f32_e32 v26, v17, v25
	v_fmac_f32_e32 v36, v15, v35
	v_fma_f32 v15, v2, v31, -v62
	v_fma_f32 v12, v12, v33, -v63
	v_add_f32_e32 v21, v22, v28
	v_sub_f32_e32 v19, v11, v14
	v_mul_f32_e32 v62, 0x3f0a6770, v9
	v_mov_b32_e32 v0, v61
	v_mul_f32_e32 v32, v2, v32
	v_fmac_f32_e32 v30, v1, v29
	v_fmac_f32_e32 v34, v13, v33
	v_fma_f32 v13, v4, v56, -v64
	v_fma_f32 v17, v6, v58, -v65
	v_add_f32_e32 v23, v24, v26
	v_sub_f32_e32 v27, v15, v12
	v_sub_f32_e32 v41, v22, v28
	v_mul_f32_e32 v63, 0xbf4178ce, v19
	v_mov_b32_e32 v1, v62
	v_fmac_f32_e32 v0, 0xbf75a155, v21
	v_mul_f32_e32 v59, v6, v59
	v_mul_f32_e32 v57, v4, v57
	v_fmac_f32_e32 v32, v3, v31
	v_add_f32_e32 v25, v30, v36
	v_sub_f32_e32 v31, v13, v17
	v_add_f32_e32 v35, v39, v18
	v_sub_f32_e32 v50, v24, v26
	v_mul_f32_e32 v64, 0x3f68dda4, v27
	v_mul_f32_e32 v66, 0xbe903f40, v41
	v_mov_b32_e32 v2, v63
	v_fmac_f32_e32 v1, 0x3f575c64, v23
	v_add_f32_e32 v0, v48, v0
	v_fmac_f32_e32 v59, v7, v58
	v_fmac_f32_e32 v57, v5, v56
	v_add_f32_e32 v29, v32, v34
	v_add_f32_e32 v49, v10, v16
	v_sub_f32_e32 v58, v30, v36
	v_mul_f32_e32 v65, 0xbf7d64f0, v31
	v_mul_f32_e32 v67, 0x3f0a6770, v50
	v_mov_b32_e32 v3, v64
	v_fma_f32 v5, v35, s12, -v66
	v_fmac_f32_e32 v2, 0xbf27a4f4, v25
	v_add_f32_e32 v0, v1, v0
	v_add_f32_e32 v33, v57, v59
	;; [unrolled: 1-line block ×3, first 2 shown]
	v_mul_f32_e32 v68, 0xbf4178ce, v58
	v_mov_b32_e32 v4, v65
	v_fma_f32 v6, v49, s6, -v67
	v_fmac_f32_e32 v3, 0x3ed4b147, v29
	v_add_f32_e32 v5, v47, v5
	v_add_f32_e32 v0, v2, v0
	v_sub_f32_e32 v69, v32, v34
	v_add_f32_e32 v60, v15, v12
	v_fma_f32 v7, v56, s11, -v68
	v_fmac_f32_e32 v4, 0xbe11bafb, v33
	v_add_f32_e32 v5, v6, v5
	v_add_f32_e32 v0, v3, v0
	v_mul_f32_e32 v70, 0x3f68dda4, v69
	v_sub_f32_e32 v72, v57, v59
	v_add_f32_e32 v5, v7, v5
	v_add_f32_e32 v1, v4, v0
	v_fma_f32 v0, v60, s7, -v70
	v_add_f32_e32 v71, v13, v17
	v_mul_f32_e32 v73, 0xbf7d64f0, v72
	v_add_f32_e32 v0, v0, v5
	v_fma_f32 v2, v71, s10, -v73
	v_mul_f32_e32 v74, 0xbf4178ce, v8
	v_add_f32_e32 v0, v2, v0
	v_mov_b32_e32 v2, v74
	v_mul_f32_e32 v75, 0x3f7d64f0, v9
	v_fmac_f32_e32 v2, 0xbf27a4f4, v21
	v_mov_b32_e32 v3, v75
	v_add_f32_e32 v2, v48, v2
	v_fmac_f32_e32 v3, 0xbe11bafb, v23
	v_mul_f32_e32 v76, 0xbf0a6770, v19
	v_add_f32_e32 v2, v3, v2
	v_mov_b32_e32 v3, v76
	v_fmac_f32_e32 v3, 0x3f575c64, v25
	v_mul_f32_e32 v77, 0xbe903f40, v27
	v_add_f32_e32 v2, v3, v2
	v_mov_b32_e32 v3, v77
	;; [unrolled: 4-line block ×3, first 2 shown]
	v_fmac_f32_e32 v3, 0x3ed4b147, v33
	v_mul_f32_e32 v79, 0xbf4178ce, v41
	v_add_f32_e32 v3, v3, v2
	v_fma_f32 v2, v35, s11, -v79
	v_mul_f32_e32 v80, 0x3f7d64f0, v50
	v_add_f32_e32 v2, v47, v2
	v_fma_f32 v4, v49, s10, -v80
	;; [unrolled: 3-line block ×5, first 2 shown]
	v_mul_f32_e32 v84, 0xbf7d64f0, v8
	v_add_f32_e32 v2, v4, v2
	v_mov_b32_e32 v4, v84
	v_mul_f32_e32 v85, 0x3e903f40, v9
	v_fmac_f32_e32 v4, 0xbe11bafb, v21
	v_mov_b32_e32 v5, v85
	v_add_f32_e32 v4, v48, v4
	v_fmac_f32_e32 v5, 0xbf75a155, v23
	v_mul_f32_e32 v86, 0x3f68dda4, v19
	v_add_f32_e32 v4, v5, v4
	v_mov_b32_e32 v5, v86
	v_fmac_f32_e32 v5, 0x3ed4b147, v25
	v_mul_f32_e32 v87, 0xbf0a6770, v27
	v_add_f32_e32 v4, v5, v4
	v_mov_b32_e32 v5, v87
	v_fmac_f32_e32 v5, 0x3f575c64, v29
	v_mul_f32_e32 v88, 0xbf7d64f0, v41
	v_add_f32_e32 v4, v5, v4
	v_fma_f32 v5, v35, s10, -v88
	v_mul_f32_e32 v89, 0x3e903f40, v50
	v_add_f32_e32 v5, v47, v5
	v_fma_f32 v6, v49, s12, -v89
	;; [unrolled: 3-line block ×4, first 2 shown]
	v_mul_f32_e32 v92, 0xbf4178ce, v31
	v_add_f32_e32 v6, v6, v5
	v_mov_b32_e32 v5, v92
	v_fmac_f32_e32 v5, 0xbf27a4f4, v33
	v_mul_f32_e32 v93, 0xbf4178ce, v72
	v_add_f32_e32 v5, v5, v4
	v_fma_f32 v4, v71, s11, -v93
	v_mul_f32_e32 v94, 0xbf68dda4, v8
	v_add_f32_e32 v4, v4, v6
	v_mov_b32_e32 v6, v94
	v_mul_f32_e32 v95, 0xbf4178ce, v9
	v_fmac_f32_e32 v6, 0x3ed4b147, v21
	v_mov_b32_e32 v7, v95
	v_add_f32_e32 v6, v48, v6
	v_fmac_f32_e32 v7, 0xbf27a4f4, v23
	v_mul_f32_e32 v96, 0x3e903f40, v19
	v_add_f32_e32 v6, v7, v6
	v_mov_b32_e32 v7, v96
	v_fmac_f32_e32 v7, 0xbf75a155, v25
	v_mul_f32_e32 v97, 0x3f7d64f0, v27
	v_add_f32_e32 v6, v7, v6
	v_mov_b32_e32 v7, v97
	v_fmac_f32_e32 v7, 0xbe11bafb, v29
	v_mul_f32_e32 v98, 0xbf68dda4, v41
	v_add_f32_e32 v6, v7, v6
	v_fma_f32 v7, v35, s7, -v98
	v_mul_f32_e32 v99, 0xbf4178ce, v50
	v_add_f32_e32 v7, v47, v7
	v_fma_f32 v100, v49, s11, -v99
	v_add_f32_e32 v7, v100, v7
	v_mul_f32_e32 v100, 0x3e903f40, v58
	v_fma_f32 v101, v56, s12, -v100
	v_add_f32_e32 v7, v101, v7
	v_mul_f32_e32 v101, 0x3f7d64f0, v69
	v_fma_f32 v102, v60, s10, -v101
	v_mul_f32_e32 v103, 0x3f0a6770, v31
	v_add_f32_e32 v102, v102, v7
	v_mov_b32_e32 v7, v103
	v_fmac_f32_e32 v7, 0x3f575c64, v33
	v_mul_f32_e32 v104, 0x3f0a6770, v72
	v_add_f32_e32 v7, v7, v6
	v_fma_f32 v6, v71, s6, -v104
	v_add_f32_e32 v6, v6, v102
	v_mul_f32_e32 v102, 0xbf0a6770, v8
	v_mov_b32_e32 v8, v102
	v_mul_f32_e32 v105, 0xbf68dda4, v9
	v_fmac_f32_e32 v8, 0x3f575c64, v21
	v_mov_b32_e32 v9, v105
	v_add_f32_e32 v8, v48, v8
	v_fmac_f32_e32 v9, 0x3ed4b147, v23
	v_mul_f32_e32 v106, 0xbf7d64f0, v19
	v_add_f32_e32 v8, v9, v8
	v_mov_b32_e32 v9, v106
	v_fmac_f32_e32 v9, 0xbe11bafb, v25
	v_mul_f32_e32 v27, 0xbf4178ce, v27
	v_add_f32_e32 v8, v9, v8
	v_mov_b32_e32 v9, v27
	v_fmac_f32_e32 v9, 0xbf27a4f4, v29
	v_mul_f32_e32 v41, 0xbf0a6770, v41
	v_add_f32_e32 v8, v9, v8
	v_fma_f32 v9, v35, s6, -v41
	v_mul_f32_e32 v50, 0xbf68dda4, v50
	v_add_f32_e32 v9, v47, v9
	v_fma_f32 v19, v49, s7, -v50
	;; [unrolled: 3-line block ×4, first 2 shown]
	v_mul_f32_e32 v31, 0xbe903f40, v31
	v_add_f32_e32 v19, v19, v9
	v_mov_b32_e32 v9, v31
	v_fmac_f32_e32 v9, 0xbf75a155, v33
	v_mul_f32_e32 v72, 0xbe903f40, v72
	v_add_f32_e32 v9, v9, v8
	v_fma_f32 v8, v71, s12, -v72
	v_add_f32_e32 v8, v8, v19
	v_add_f32_e32 v19, v48, v22
	v_add_f32_e32 v22, v47, v39
	v_add_f32_e32 v10, v22, v10
	v_add_f32_e32 v10, v10, v11
	v_add_f32_e32 v10, v10, v15
	v_add_f32_e32 v10, v10, v13
	v_add_f32_e32 v10, v10, v17
	v_add_f32_e32 v10, v10, v12
	v_fma_f32 v12, v21, s12, -v61
	v_add_f32_e32 v19, v19, v24
	v_add_f32_e32 v12, v48, v12
	v_fma_f32 v13, v23, s6, -v62
	v_add_f32_e32 v19, v19, v30
	v_add_f32_e32 v12, v13, v12
	;; [unrolled: 3-line block ×3, first 2 shown]
	v_fma_f32 v13, v29, s7, -v64
	v_fmac_f32_e32 v66, 0xbf75a155, v35
	v_add_f32_e32 v19, v19, v57
	v_add_f32_e32 v12, v13, v12
	;; [unrolled: 1-line block ×3, first 2 shown]
	v_fmac_f32_e32 v67, 0x3f575c64, v49
	v_add_f32_e32 v19, v19, v59
	v_add_f32_e32 v13, v67, v13
	v_fmac_f32_e32 v68, 0xbf27a4f4, v56
	v_add_f32_e32 v19, v19, v34
	v_add_f32_e32 v10, v10, v14
	v_add_f32_e32 v13, v68, v13
	v_fmac_f32_e32 v70, 0x3ed4b147, v60
	v_add_f32_e32 v19, v19, v36
	v_add_f32_e32 v10, v10, v16
	;; [unrolled: 1-line block ×3, first 2 shown]
	v_fma_f32 v13, v33, s10, -v65
	v_fmac_f32_e32 v73, 0xbe11bafb, v71
	v_add_f32_e32 v19, v19, v26
	v_add_f32_e32 v10, v10, v18
	;; [unrolled: 1-line block ×4, first 2 shown]
	v_fma_f32 v14, v21, s11, -v74
	v_fma_f32 v16, v21, s10, -v84
	;; [unrolled: 1-line block ×4, first 2 shown]
	v_add_f32_e32 v11, v19, v28
	v_add_f32_e32 v14, v48, v14
	v_fma_f32 v15, v23, s10, -v75
	v_add_f32_e32 v16, v48, v16
	v_fma_f32 v17, v23, s12, -v85
	;; [unrolled: 2-line block ×13, first 2 shown]
	v_fmac_f32_e32 v79, 0xbf27a4f4, v35
	v_add_f32_e32 v16, v17, v16
	v_fma_f32 v17, v33, s11, -v92
	v_fmac_f32_e32 v88, 0xbe11bafb, v35
	v_add_f32_e32 v18, v19, v18
	v_fma_f32 v19, v33, s6, -v103
	;; [unrolled: 3-line block ×3, first 2 shown]
	v_fmac_f32_e32 v41, 0x3f575c64, v35
	v_add_f32_e32 v15, v15, v14
	v_add_f32_e32 v14, v47, v79
	v_fmac_f32_e32 v80, 0xbe11bafb, v49
	v_add_f32_e32 v17, v17, v16
	v_add_f32_e32 v16, v47, v88
	;; [unrolled: 3-line block ×4, first 2 shown]
	v_fmac_f32_e32 v50, 0x3ed4b147, v49
	v_add_f32_e32 v14, v80, v14
	v_fmac_f32_e32 v81, 0x3f575c64, v56
	v_add_f32_e32 v16, v89, v16
	v_fmac_f32_e32 v90, 0x3ed4b147, v56
	v_add_f32_e32 v18, v99, v18
	v_fmac_f32_e32 v100, 0xbf75a155, v56
	v_add_f32_e32 v21, v50, v21
	v_fmac_f32_e32 v58, 0xbe11bafb, v56
	v_add_f32_e32 v14, v81, v14
	v_fmac_f32_e32 v82, 0xbf75a155, v60
	v_add_f32_e32 v16, v90, v16
	v_fmac_f32_e32 v91, 0x3f575c64, v60
	v_add_f32_e32 v18, v100, v18
	v_fmac_f32_e32 v101, 0xbe11bafb, v60
	v_add_f32_e32 v21, v58, v21
	v_fmac_f32_e32 v69, 0xbf27a4f4, v60
	v_mad_u32_u24 v23, v37, s14, 0
	v_lshlrev_b32_sdwa v24, v20, v38 dst_sel:DWORD dst_unused:UNUSED_PAD src0_sel:DWORD src1_sel:BYTE_0
	v_add_f32_e32 v14, v82, v14
	v_fmac_f32_e32 v83, 0x3ed4b147, v71
	v_add_f32_e32 v16, v91, v16
	v_fmac_f32_e32 v93, 0xbf27a4f4, v71
	v_add_f32_e32 v18, v101, v18
	v_fmac_f32_e32 v104, 0x3f575c64, v71
	v_add_f32_e32 v21, v69, v21
	v_fmac_f32_e32 v72, 0xbf75a155, v71
	v_add3_u32 v23, v23, v24, v54
	v_add_f32_e32 v14, v83, v14
	v_add_f32_e32 v16, v93, v16
	;; [unrolled: 1-line block ×4, first 2 shown]
	ds_write2_b64 v23, v[10:11], v[8:9] offset1:6
	ds_write2_b64 v23, v[6:7], v[4:5] offset0:12 offset1:18
	ds_write2_b64 v23, v[2:3], v[0:1] offset0:24 offset1:30
	;; [unrolled: 1-line block ×4, first 2 shown]
	ds_write_b64 v23, v[21:22] offset:480
.LBB0_16:
	s_or_b64 exec, exec, s[4:5]
	v_mov_b32_e32 v41, 0
	v_lshlrev_b64 v[0:1], 3, v[40:41]
	s_movk_i32 s4, 0xf9
	v_add_u32_e32 v8, 0x108, v40
	v_mov_b32_e32 v9, s9
	v_add_co_u32_e32 v2, vcc, s8, v0
	v_mul_lo_u16_sdwa v11, v44, s4 dst_sel:DWORD dst_unused:UNUSED_PAD src0_sel:BYTE_0 src1_sel:DWORD
	s_mov_b32 s4, 0xf83f
	v_addc_co_u32_e32 v3, vcc, v9, v1, vcc
	v_mul_u32_u24_sdwa v81, v8, s4 dst_sel:DWORD dst_unused:UNUSED_PAD src0_sel:WORD_0 src1_sel:DWORD
	s_waitcnt lgkmcnt(0)
	s_barrier
	global_load_dwordx2 v[56:57], v[2:3], off offset:480
	v_lshrrev_b32_e32 v2, 22, v81
	v_add_u32_e32 v7, 0x14a, v40
	v_mul_lo_u16_e32 v2, 0x42, v2
	v_sub_u16_e32 v2, v8, v2
	v_mul_u32_u24_sdwa v83, v7, s4 dst_sel:DWORD dst_unused:UNUSED_PAD src0_sel:WORD_0 src1_sel:DWORD
	v_lshlrev_b32_e32 v82, 3, v2
	v_lshrrev_b32_e32 v2, 22, v83
	v_mul_lo_u16_e32 v2, 0x42, v2
	v_add_u32_e32 v4, 0x18c, v40
	v_sub_u16_e32 v2, v7, v2
	v_lshlrev_b32_e32 v84, 3, v2
	v_mul_u32_u24_sdwa v2, v4, s4 dst_sel:DWORD dst_unused:UNUSED_PAD src0_sel:WORD_0 src1_sel:DWORD
	v_lshrrev_b32_e32 v2, 22, v2
	v_lshrrev_b16_e32 v11, 14, v11
	v_mul_lo_u16_e32 v2, 0x42, v2
	v_add_u32_e32 v5, 0x1ce, v40
	v_mul_lo_u16_e32 v11, 0x42, v11
	v_sub_u16_e32 v2, v4, v2
	v_add_u32_e32 v10, 0xc6, v40
	v_sub_u16_e32 v11, v44, v11
	v_lshlrev_b32_e32 v85, 3, v2
	v_mul_u32_u24_sdwa v2, v5, s4 dst_sel:DWORD dst_unused:UNUSED_PAD src0_sel:WORD_0 src1_sel:DWORD
	v_lshlrev_b32_sdwa v39, v20, v11 dst_sel:DWORD dst_unused:UNUSED_PAD src0_sel:DWORD src1_sel:BYTE_0
	v_mul_u32_u24_sdwa v11, v10, s4 dst_sel:DWORD dst_unused:UNUSED_PAD src0_sel:WORD_0 src1_sel:DWORD
	v_lshrrev_b32_e32 v2, 22, v2
	v_lshrrev_b32_e32 v11, 22, v11
	v_mul_lo_u16_e32 v2, 0x42, v2
	v_add_u32_e32 v6, 0x210, v40
	v_mul_lo_u16_e32 v11, 0x42, v11
	v_sub_u16_e32 v2, v5, v2
	v_sub_u16_e32 v11, v10, v11
	v_lshlrev_b32_e32 v86, 3, v2
	v_mul_u32_u24_sdwa v2, v6, s4 dst_sel:DWORD dst_unused:UNUSED_PAD src0_sel:WORD_0 src1_sel:DWORD
	v_lshlrev_b32_e32 v80, 3, v11
	global_load_dwordx2 v[58:59], v39, s[8:9] offset:480
	global_load_dwordx2 v[60:61], v80, s[8:9] offset:480
	;; [unrolled: 1-line block ×3, first 2 shown]
	v_lshrrev_b32_e32 v2, 22, v2
	global_load_dwordx2 v[64:65], v84, s[8:9] offset:480
	global_load_dwordx2 v[66:67], v85, s[8:9] offset:480
	;; [unrolled: 1-line block ×3, first 2 shown]
	v_mul_lo_u16_e32 v2, 0x42, v2
	v_sub_u16_e32 v2, v6, v2
	v_lshlrev_b32_e32 v87, 3, v2
	global_load_dwordx2 v[70:71], v87, s[8:9] offset:480
	v_add_u32_e32 v2, 0x1000, v53
	ds_read2_b64 v[15:18], v2 offset0:82 offset1:148
	v_add3_u32 v5, 0, v55, v54
	v_lshlrev_b32_e32 v6, 3, v44
	v_add_u32_e32 v11, 0x1400, v53
	ds_read_b64 v[72:73], v51
	v_add_u32_e32 v4, 0x400, v53
	v_add_u32_e32 v12, 0x1800, v53
	;; [unrolled: 1-line block ×5, first 2 shown]
	v_add3_u32 v6, 0, v6, v54
	ds_read2_b64 v[19:22], v11 offset0:86 offset1:152
	ds_read2_b64 v[23:26], v4 offset0:70 offset1:136
	;; [unrolled: 1-line block ×6, first 2 shown]
	ds_read_b64 v[74:75], v6
	ds_read_b64 v[76:77], v5
	ds_read_b64 v[78:79], v53 offset:8976
	s_waitcnt vmcnt(0) lgkmcnt(0)
	s_barrier
	s_add_u32 s6, s8, 0x24f0
	s_addc_u32 s7, s9, 0
	v_mul_f32_e32 v88, v57, v15
	v_mul_f32_e32 v55, v57, v16
	v_fmac_f32_e32 v88, v56, v16
	v_mul_f32_e32 v16, v57, v18
	v_fma_f32 v15, v56, v15, -v55
	v_fma_f32 v55, v56, v17, -v16
	v_mul_f32_e32 v57, v57, v17
	v_fmac_f32_e32 v57, v56, v18
	v_sub_f32_e32 v15, v72, v15
	v_fma_f32 v17, v72, 2.0, -v15
	v_mul_f32_e32 v16, v20, v59
	v_fma_f32 v56, v19, v58, -v16
	v_mul_f32_e32 v59, v19, v59
	v_mul_f32_e32 v16, v22, v61
	v_fmac_f32_e32 v59, v20, v58
	v_fma_f32 v58, v21, v60, -v16
	v_mul_f32_e32 v61, v21, v61
	v_mul_f32_e32 v16, v28, v63
	v_fmac_f32_e32 v61, v22, v60
	;; [unrolled: 4-line block ×6, first 2 shown]
	v_fma_f32 v68, v78, v70, -v16
	v_sub_f32_e32 v16, v73, v88
	v_fma_f32 v18, v73, 2.0, -v16
	v_sub_f32_e32 v19, v76, v55
	v_sub_f32_e32 v20, v77, v57
	v_fma_f32 v21, v76, 2.0, -v19
	v_fma_f32 v22, v77, 2.0, -v20
	v_sub_f32_e32 v27, v74, v56
	v_sub_f32_e32 v28, v75, v59
	ds_write2_b64 v53, v[17:18], v[15:16] offset1:66
	ds_write2_b64 v53, v[21:22], v[19:20] offset0:132 offset1:198
	v_add3_u32 v15, 0, v39, v54
	v_fma_f32 v29, v74, 2.0, -v27
	v_fma_f32 v30, v75, 2.0, -v28
	v_add_u32_e32 v15, 0x800, v15
	v_sub_f32_e32 v35, v23, v58
	v_sub_f32_e32 v36, v24, v61
	ds_write2_b64 v15, v[29:30], v[27:28] offset0:8 offset1:74
	v_add3_u32 v15, 0, v80, v54
	v_fma_f32 v23, v23, 2.0, -v35
	v_fma_f32 v24, v24, 2.0, -v36
	v_add_u32_e32 v15, 0x800, v15
	v_sub_f32_e32 v37, v25, v60
	v_sub_f32_e32 v38, v26, v63
	;; [unrolled: 7-line block ×4, first 2 shown]
	ds_write2_b64 v15, v[31:32], v[55:56] offset0:148 offset1:214
	v_add3_u32 v15, 0, v85, v54
	v_fma_f32 v33, v33, 2.0, -v57
	v_fma_f32 v34, v34, 2.0, -v58
	v_add_u32_e32 v15, 0x1800, v15
	v_mul_f32_e32 v71, v78, v71
	v_sub_f32_e32 v59, v47, v66
	v_sub_f32_e32 v60, v48, v69
	ds_write2_b64 v15, v[33:34], v[57:58] offset0:24 offset1:90
	v_add3_u32 v15, 0, v86, v54
	v_fmac_f32_e32 v71, v79, v70
	v_fma_f32 v47, v47, 2.0, -v59
	v_fma_f32 v48, v48, 2.0, -v60
	v_add_u32_e32 v15, 0x1800, v15
	v_sub_f32_e32 v61, v49, v68
	v_sub_f32_e32 v62, v50, v71
	ds_write2_b64 v15, v[47:48], v[59:60] offset0:156 offset1:222
	v_add3_u32 v15, 0, v87, v54
	v_fma_f32 v49, v49, 2.0, -v61
	v_fma_f32 v50, v50, 2.0, -v62
	v_add_u32_e32 v15, 0x2000, v15
	ds_write2_b64 v15, v[49:50], v[61:62] offset0:32 offset1:98
	v_lshlrev_b32_e32 v15, 1, v40
	v_mov_b32_e32 v16, v41
	v_lshlrev_b64 v[15:16], 3, v[15:16]
	v_lshlrev_b32_e32 v19, 1, v46
	v_add_co_u32_e32 v71, vcc, s8, v15
	v_addc_co_u32_e32 v72, vcc, v9, v16, vcc
	v_mov_b32_e32 v20, v41
	s_waitcnt lgkmcnt(0)
	s_barrier
	global_load_dwordx4 v[15:18], v[71:72], off offset:1008
	v_lshlrev_b64 v[19:20], 3, v[19:20]
	v_lshrrev_b32_e32 v23, 23, v81
	v_add_co_u32_e32 v73, vcc, s8, v19
	v_addc_co_u32_e32 v74, vcc, v9, v20, vcc
	global_load_dwordx4 v[19:22], v[73:74], off offset:1008
	v_mul_lo_u16_e32 v23, 0x84, v23
	v_sub_u16_e32 v39, v8, v23
	v_lshrrev_b32_e32 v27, 23, v83
	v_lshlrev_b32_e32 v23, 4, v39
	v_mul_lo_u16_e32 v27, 0x84, v27
	global_load_dwordx4 v[23:26], v23, s[8:9] offset:1008
	v_sub_u16_e32 v83, v7, v27
	v_lshlrev_b32_e32 v27, 4, v83
	global_load_dwordx4 v[27:30], v27, s[8:9] offset:1008
	ds_read_b64 v[75:76], v51
	ds_read2_b64 v[31:34], v13 offset0:74 offset1:140
	ds_read2_b64 v[35:38], v11 offset0:86 offset1:152
	;; [unrolled: 1-line block ×4, first 2 shown]
	ds_read_b64 v[77:78], v6
	ds_read2_b64 v[59:62], v4 offset0:70 offset1:136
	ds_read2_b64 v[63:66], v2 offset0:82 offset1:148
	;; [unrolled: 1-line block ×3, first 2 shown]
	ds_read_b64 v[79:80], v5
	ds_read_b64 v[81:82], v53 offset:8976
	s_waitcnt vmcnt(0) lgkmcnt(0)
	s_barrier
	v_lshlrev_b32_e32 v7, 1, v7
	v_mul_f32_e32 v84, v16, v34
	v_fma_f32 v84, v15, v33, -v84
	v_mul_f32_e32 v33, v16, v33
	v_fmac_f32_e32 v33, v15, v34
	v_mul_f32_e32 v34, v18, v38
	v_fma_f32 v34, v17, v37, -v34
	v_mul_f32_e32 v37, v18, v37
	v_fmac_f32_e32 v37, v17, v38
	;; [unrolled: 4-line block ×5, first 2 shown]
	v_mul_f32_e32 v15, v58, v18
	v_fma_f32 v50, v57, v17, -v15
	v_mul_f32_e32 v57, v57, v18
	v_mul_f32_e32 v15, v64, v20
	v_fmac_f32_e32 v57, v58, v17
	v_fma_f32 v58, v63, v19, -v15
	v_mul_f32_e32 v63, v63, v20
	v_mul_f32_e32 v15, v68, v22
	v_fmac_f32_e32 v63, v64, v19
	v_fma_f32 v64, v67, v21, -v15
	v_mul_f32_e32 v67, v67, v22
	v_mul_f32_e32 v15, v66, v24
	v_fmac_f32_e32 v67, v68, v21
	v_fma_f32 v68, v65, v23, -v15
	v_mul_f32_e32 v65, v65, v24
	v_mul_f32_e32 v15, v70, v26
	v_fmac_f32_e32 v65, v66, v23
	v_fma_f32 v66, v69, v25, -v15
	v_mul_f32_e32 v69, v69, v26
	v_mul_f32_e32 v15, v36, v28
	v_fmac_f32_e32 v69, v70, v25
	v_fma_f32 v70, v35, v27, -v15
	v_mul_f32_e32 v15, v82, v30
	v_add_f32_e32 v16, v84, v34
	v_fma_f32 v86, v81, v29, -v15
	v_add_f32_e32 v15, v75, v84
	v_fma_f32 v75, -0.5, v16, v75
	v_sub_f32_e32 v16, v33, v37
	v_mov_b32_e32 v17, v75
	v_add_f32_e32 v18, v33, v37
	v_fmac_f32_e32 v17, 0x3f5db3d7, v16
	v_fmac_f32_e32 v75, 0xbf5db3d7, v16
	v_add_f32_e32 v16, v76, v33
	v_fmac_f32_e32 v76, -0.5, v18
	v_sub_f32_e32 v19, v84, v34
	v_mov_b32_e32 v18, v76
	v_add_f32_e32 v20, v38, v48
	v_fmac_f32_e32 v18, 0xbf5db3d7, v19
	v_fmac_f32_e32 v76, 0x3f5db3d7, v19
	v_add_f32_e32 v19, v79, v38
	v_fma_f32 v79, -0.5, v20, v79
	v_sub_f32_e32 v20, v47, v55
	v_mov_b32_e32 v21, v79
	v_add_f32_e32 v22, v47, v55
	v_fmac_f32_e32 v21, 0x3f5db3d7, v20
	v_fmac_f32_e32 v79, 0xbf5db3d7, v20
	v_add_f32_e32 v20, v80, v47
	v_fmac_f32_e32 v80, -0.5, v22
	v_sub_f32_e32 v23, v38, v48
	v_mov_b32_e32 v22, v80
	v_add_f32_e32 v24, v56, v50
	v_mul_f32_e32 v81, v81, v30
	v_fmac_f32_e32 v22, 0xbf5db3d7, v23
	v_fmac_f32_e32 v80, 0x3f5db3d7, v23
	v_add_f32_e32 v23, v77, v56
	v_fma_f32 v77, -0.5, v24, v77
	v_add_f32_e32 v30, v63, v67
	v_mul_f32_e32 v85, v35, v28
	v_sub_f32_e32 v24, v49, v57
	v_mov_b32_e32 v25, v77
	v_add_f32_e32 v26, v49, v57
	v_add_f32_e32 v28, v58, v64
	v_fma_f32 v30, -0.5, v30, v60
	v_fmac_f32_e32 v85, v36, v27
	v_fmac_f32_e32 v81, v82, v29
	v_add_f32_e32 v15, v15, v34
	v_fmac_f32_e32 v25, 0x3f5db3d7, v24
	v_fmac_f32_e32 v77, 0xbf5db3d7, v24
	v_add_f32_e32 v24, v78, v49
	v_fmac_f32_e32 v78, -0.5, v26
	v_fma_f32 v29, -0.5, v28, v59
	v_sub_f32_e32 v35, v58, v64
	v_mov_b32_e32 v34, v30
	v_add_f32_e32 v36, v68, v66
	v_sub_f32_e32 v27, v56, v50
	v_mov_b32_e32 v26, v78
	v_sub_f32_e32 v28, v63, v67
	v_mov_b32_e32 v33, v29
	v_fmac_f32_e32 v34, 0xbf5db3d7, v35
	v_fmac_f32_e32 v30, 0x3f5db3d7, v35
	v_add_f32_e32 v35, v61, v68
	v_fma_f32 v61, -0.5, v36, v61
	v_add_f32_e32 v16, v16, v37
	v_fmac_f32_e32 v26, 0xbf5db3d7, v27
	v_fmac_f32_e32 v78, 0x3f5db3d7, v27
	v_add_f32_e32 v27, v59, v58
	v_fmac_f32_e32 v33, 0x3f5db3d7, v28
	v_fmac_f32_e32 v29, 0xbf5db3d7, v28
	v_add_f32_e32 v28, v60, v63
	v_sub_f32_e32 v36, v65, v69
	v_mov_b32_e32 v37, v61
	v_add_f32_e32 v38, v65, v69
	v_add_f32_e32 v19, v19, v48
	;; [unrolled: 1-line block ×7, first 2 shown]
	v_fmac_f32_e32 v37, 0x3f5db3d7, v36
	v_fmac_f32_e32 v61, 0xbf5db3d7, v36
	v_add_f32_e32 v36, v62, v65
	v_fmac_f32_e32 v62, -0.5, v38
	ds_write2_b64 v53, v[15:16], v[17:18] offset1:132
	ds_write_b64 v53, v[75:76] offset:2112
	ds_write2_b64 v5, v[19:20], v[21:22] offset1:132
	ds_write_b64 v5, v[79:80] offset:2112
	ds_write2_b64 v14, v[23:24], v[25:26] offset0:12 offset1:144
	ds_write_b64 v53, v[77:78] offset:5280
	v_add_u32_e32 v15, 0xc00, v5
	v_sub_f32_e32 v47, v68, v66
	v_mov_b32_e32 v38, v62
	v_add_f32_e32 v48, v70, v86
	ds_write2_b64 v15, v[27:28], v[33:34] offset0:12 offset1:144
	ds_write_b64 v5, v[29:30] offset:5280
	v_lshlrev_b32_e32 v15, 3, v39
	v_fmac_f32_e32 v38, 0xbf5db3d7, v47
	v_fmac_f32_e32 v62, 0x3f5db3d7, v47
	v_add_f32_e32 v47, v31, v70
	v_fma_f32 v31, -0.5, v48, v31
	v_add3_u32 v15, 0, v15, v54
	v_add_f32_e32 v35, v35, v66
	v_add_f32_e32 v36, v36, v69
	v_sub_f32_e32 v48, v85, v81
	v_mov_b32_e32 v49, v31
	v_add_f32_e32 v50, v85, v81
	v_add_u32_e32 v16, 0x1800, v15
	v_fmac_f32_e32 v49, 0x3f5db3d7, v48
	v_fmac_f32_e32 v31, 0xbf5db3d7, v48
	v_add_f32_e32 v48, v32, v85
	v_fmac_f32_e32 v32, -0.5, v50
	ds_write2_b64 v16, v[35:36], v[37:38] offset0:24 offset1:156
	ds_write_b64 v15, v[61:62] offset:8448
	v_lshlrev_b32_e32 v15, 3, v83
	v_sub_f32_e32 v55, v70, v86
	v_mov_b32_e32 v50, v32
	v_add3_u32 v15, 0, v15, v54
	v_lshlrev_b32_e32 v23, 1, v44
	v_mov_b32_e32 v24, v41
	v_add_f32_e32 v47, v47, v86
	v_add_f32_e32 v48, v48, v81
	v_fmac_f32_e32 v50, 0xbf5db3d7, v55
	v_add_u32_e32 v16, 0x1800, v15
	v_lshlrev_b64 v[23:24], 3, v[23:24]
	v_fmac_f32_e32 v32, 0x3f5db3d7, v55
	ds_write2_b64 v16, v[47:48], v[49:50] offset0:24 offset1:156
	ds_write_b64 v15, v[31:32] offset:8448
	s_waitcnt lgkmcnt(0)
	s_barrier
	global_load_dwordx4 v[15:18], v[71:72], off offset:3120
	global_load_dwordx4 v[19:22], v[73:74], off offset:3120
	v_lshlrev_b32_e32 v27, 1, v10
	v_mov_b32_e32 v28, v41
	v_add_co_u32_e32 v23, vcc, s8, v23
	v_lshlrev_b64 v[27:28], 3, v[27:28]
	v_addc_co_u32_e32 v24, vcc, v9, v24, vcc
	v_lshlrev_b32_e32 v31, 1, v8
	v_mov_b32_e32 v32, v41
	global_load_dwordx4 v[23:26], v[23:24], off offset:3120
	v_add_co_u32_e32 v27, vcc, s8, v27
	v_lshlrev_b64 v[31:32], 3, v[31:32]
	v_addc_co_u32_e32 v28, vcc, v9, v28, vcc
	v_mov_b32_e32 v8, v41
	global_load_dwordx4 v[27:30], v[27:28], off offset:3120
	v_add_co_u32_e32 v31, vcc, s8, v31
	v_lshlrev_b64 v[7:8], 3, v[7:8]
	v_addc_co_u32_e32 v32, vcc, v9, v32, vcc
	global_load_dwordx4 v[31:34], v[31:32], off offset:3120
	v_add_co_u32_e32 v7, vcc, s8, v7
	v_addc_co_u32_e32 v8, vcc, v9, v8, vcc
	global_load_dwordx4 v[7:10], v[7:8], off offset:3120
	ds_read_b64 v[70:71], v51
	ds_read2_b64 v[35:38], v13 offset0:74 offset1:140
	ds_read2_b64 v[47:50], v11 offset0:86 offset1:152
	;; [unrolled: 1-line block ×4, first 2 shown]
	ds_read_b64 v[72:73], v6
	ds_read2_b64 v[58:61], v4 offset0:70 offset1:136
	ds_read2_b64 v[62:65], v2 offset0:82 offset1:148
	;; [unrolled: 1-line block ×3, first 2 shown]
	ds_read_b64 v[74:75], v5
	ds_read_b64 v[76:77], v53 offset:8976
	s_waitcnt vmcnt(0) lgkmcnt(0)
	s_barrier
	v_cmp_ne_u32_e32 vcc, 0, v40
	v_mul_f32_e32 v39, v16, v38
	v_mul_f32_e32 v16, v16, v37
	v_fma_f32 v39, v15, v37, -v39
	v_fmac_f32_e32 v16, v15, v38
	v_mul_f32_e32 v15, v18, v50
	v_mul_f32_e32 v18, v18, v49
	v_fma_f32 v15, v17, v49, -v15
	v_fmac_f32_e32 v18, v17, v50
	;; [unrolled: 4-line block ×3, first 2 shown]
	v_mul_f32_e32 v19, v22, v12
	v_fma_f32 v19, v21, v11, -v19
	v_mul_f32_e32 v22, v22, v11
	v_mul_f32_e32 v11, v57, v24
	v_fmac_f32_e32 v22, v21, v12
	v_fma_f32 v21, v56, v23, -v11
	v_mul_f32_e32 v24, v56, v24
	v_mul_f32_e32 v11, v14, v26
	v_fmac_f32_e32 v24, v57, v23
	;; [unrolled: 4-line block ×6, first 2 shown]
	v_fma_f32 v31, v68, v33, -v11
	v_mul_f32_e32 v34, v68, v34
	v_mul_f32_e32 v11, v48, v8
	;; [unrolled: 1-line block ×3, first 2 shown]
	v_fmac_f32_e32 v34, v69, v33
	v_fma_f32 v33, v47, v7, -v11
	v_fmac_f32_e32 v37, v48, v7
	v_mul_f32_e32 v7, v77, v10
	v_add_f32_e32 v8, v39, v15
	v_fma_f32 v38, v76, v9, -v7
	v_mul_f32_e32 v41, v76, v10
	v_add_f32_e32 v7, v70, v39
	v_fma_f32 v70, -0.5, v8, v70
	v_fmac_f32_e32 v41, v77, v9
	v_sub_f32_e32 v8, v16, v18
	v_mov_b32_e32 v9, v70
	v_add_f32_e32 v10, v16, v18
	v_fmac_f32_e32 v9, 0x3f5db3d7, v8
	v_fmac_f32_e32 v70, 0xbf5db3d7, v8
	v_add_f32_e32 v8, v71, v16
	v_fmac_f32_e32 v71, -0.5, v10
	v_sub_f32_e32 v11, v39, v15
	v_mov_b32_e32 v10, v71
	v_add_f32_e32 v12, v17, v19
	v_fmac_f32_e32 v10, 0xbf5db3d7, v11
	v_fmac_f32_e32 v71, 0x3f5db3d7, v11
	v_add_f32_e32 v11, v74, v17
	v_fma_f32 v74, -0.5, v12, v74
	v_sub_f32_e32 v12, v20, v22
	v_mov_b32_e32 v13, v74
	v_add_f32_e32 v14, v20, v22
	v_fmac_f32_e32 v13, 0x3f5db3d7, v12
	v_fmac_f32_e32 v74, 0xbf5db3d7, v12
	v_add_f32_e32 v12, v75, v20
	v_fmac_f32_e32 v75, -0.5, v14
	v_add_f32_e32 v7, v7, v15
	v_sub_f32_e32 v15, v17, v19
	v_mov_b32_e32 v14, v75
	v_add_f32_e32 v16, v21, v23
	v_fmac_f32_e32 v14, 0xbf5db3d7, v15
	v_fmac_f32_e32 v75, 0x3f5db3d7, v15
	v_add_f32_e32 v15, v72, v21
	v_fma_f32 v72, -0.5, v16, v72
	v_add_f32_e32 v8, v8, v18
	v_sub_f32_e32 v16, v24, v26
	v_mov_b32_e32 v17, v72
	v_add_f32_e32 v18, v24, v26
	v_add_f32_e32 v12, v12, v22
	v_fmac_f32_e32 v17, 0x3f5db3d7, v16
	v_fmac_f32_e32 v72, 0xbf5db3d7, v16
	v_add_f32_e32 v16, v73, v24
	v_fmac_f32_e32 v73, -0.5, v18
	v_add_f32_e32 v22, v28, v30
	v_add_f32_e32 v11, v11, v19
	v_sub_f32_e32 v19, v21, v23
	v_mov_b32_e32 v18, v73
	v_add_f32_e32 v20, v25, v27
	v_fma_f32 v22, -0.5, v22, v59
	v_add_f32_e32 v16, v16, v26
	v_fmac_f32_e32 v18, 0xbf5db3d7, v19
	v_fmac_f32_e32 v73, 0x3f5db3d7, v19
	v_add_f32_e32 v19, v58, v25
	v_fma_f32 v21, -0.5, v20, v58
	v_sub_f32_e32 v25, v25, v27
	v_mov_b32_e32 v24, v22
	v_add_f32_e32 v26, v29, v31
	v_add_f32_e32 v15, v15, v23
	v_sub_f32_e32 v20, v28, v30
	v_mov_b32_e32 v23, v21
	v_fmac_f32_e32 v24, 0xbf5db3d7, v25
	v_fmac_f32_e32 v22, 0x3f5db3d7, v25
	v_add_f32_e32 v25, v60, v29
	v_fma_f32 v60, -0.5, v26, v60
	v_add_f32_e32 v19, v19, v27
	v_fmac_f32_e32 v23, 0x3f5db3d7, v20
	v_fmac_f32_e32 v21, 0xbf5db3d7, v20
	v_add_f32_e32 v20, v59, v28
	v_sub_f32_e32 v26, v32, v34
	v_mov_b32_e32 v27, v60
	v_add_f32_e32 v28, v32, v34
	v_fmac_f32_e32 v27, 0x3f5db3d7, v26
	v_fmac_f32_e32 v60, 0xbf5db3d7, v26
	v_add_f32_e32 v26, v61, v32
	v_fmac_f32_e32 v61, -0.5, v28
	v_add_f32_e32 v20, v20, v30
	v_sub_f32_e32 v29, v29, v31
	v_mov_b32_e32 v28, v61
	v_add_f32_e32 v30, v33, v38
	v_fmac_f32_e32 v28, 0xbf5db3d7, v29
	v_fmac_f32_e32 v61, 0x3f5db3d7, v29
	v_add_f32_e32 v29, v35, v33
	v_fma_f32 v35, -0.5, v30, v35
	v_add_f32_e32 v25, v25, v31
	v_sub_f32_e32 v30, v37, v41
	v_mov_b32_e32 v31, v35
	v_add_f32_e32 v32, v37, v41
	v_fmac_f32_e32 v31, 0x3f5db3d7, v30
	v_fmac_f32_e32 v35, 0xbf5db3d7, v30
	v_add_f32_e32 v30, v36, v37
	v_fmac_f32_e32 v36, -0.5, v32
	v_sub_f32_e32 v33, v33, v38
	v_mov_b32_e32 v32, v36
	v_add_f32_e32 v26, v26, v34
	v_add_f32_e32 v29, v29, v38
	;; [unrolled: 1-line block ×3, first 2 shown]
	v_fmac_f32_e32 v32, 0xbf5db3d7, v33
	v_fmac_f32_e32 v36, 0x3f5db3d7, v33
	ds_write_b64 v53, v[7:8]
	ds_write_b64 v53, v[9:10] offset:3168
	ds_write_b64 v53, v[70:71] offset:6336
	ds_write_b64 v5, v[11:12]
	ds_write_b64 v5, v[13:14] offset:3168
	ds_write_b64 v5, v[74:75] offset:6336
	;; [unrolled: 3-line block ×3, first 2 shown]
	ds_write2_b64 v4, v[19:20], v[25:26] offset0:70 offset1:136
	ds_write2_b64 v2, v[23:24], v[27:28] offset0:82 offset1:148
	;; [unrolled: 1-line block ×3, first 2 shown]
	ds_write_b64 v53, v[29:30] offset:2640
	ds_write_b64 v53, v[31:32] offset:5808
	;; [unrolled: 1-line block ×3, first 2 shown]
	s_waitcnt lgkmcnt(0)
	s_barrier
	ds_read_b64 v[4:5], v51
	v_sub_u32_e32 v6, v52, v45
                                        ; implicit-def: $vgpr2
                                        ; implicit-def: $vgpr7
                                        ; implicit-def: $vgpr8
	s_and_saveexec_b64 s[4:5], vcc
	s_xor_b64 s[4:5], exec, s[4:5]
	s_cbranch_execz .LBB0_18
; %bb.17:
	v_mov_b32_e32 v3, s7
	v_add_co_u32_e32 v2, vcc, s6, v0
	v_addc_co_u32_e32 v3, vcc, v3, v1, vcc
	global_load_dwordx2 v[9:10], v[2:3], off
	ds_read_b64 v[2:3], v6 offset:9504
	s_waitcnt lgkmcnt(0)
	v_add_f32_e32 v11, v2, v4
	v_sub_f32_e32 v2, v4, v2
	v_add_f32_e32 v7, v3, v5
	v_sub_f32_e32 v3, v5, v3
	v_mul_f32_e32 v5, 0.5, v2
	v_mul_f32_e32 v4, 0.5, v7
	v_mul_f32_e32 v2, 0.5, v3
	s_waitcnt vmcnt(0)
	v_mul_f32_e32 v3, v10, v5
	v_fma_f32 v8, v4, v10, v2
	v_fma_f32 v10, v4, v10, -v2
	v_fma_f32 v7, 0.5, v11, v3
	v_fma_f32 v2, v11, 0.5, -v3
	v_fma_f32 v8, -v9, v5, v8
	v_fmac_f32_e32 v7, v9, v4
	v_fma_f32 v2, -v9, v4, v2
	v_fma_f32 v3, -v9, v5, v10
                                        ; implicit-def: $vgpr4_vgpr5
.LBB0_18:
	s_andn2_saveexec_b64 s[4:5], s[4:5]
	s_cbranch_execz .LBB0_20
; %bb.19:
	ds_read_b32 v3, v52 offset:4756
	s_waitcnt lgkmcnt(1)
	v_add_f32_e32 v7, v4, v5
	v_sub_f32_e32 v2, v4, v5
	v_mov_b32_e32 v8, 0
	s_waitcnt lgkmcnt(0)
	v_xor_b32_e32 v3, 0x80000000, v3
	ds_write_b32 v52, v3 offset:4756
	v_mov_b32_e32 v3, 0
.LBB0_20:
	s_or_b64 exec, exec, s[4:5]
	v_mov_b32_e32 v47, 0
	s_waitcnt lgkmcnt(0)
	v_lshlrev_b64 v[4:5], 3, v[46:47]
	v_mov_b32_e32 v9, s7
	v_add_co_u32_e32 v4, vcc, s6, v4
	v_addc_co_u32_e32 v5, vcc, v9, v5, vcc
	global_load_dwordx2 v[4:5], v[4:5], off
	v_mov_b32_e32 v45, v47
	v_lshlrev_b64 v[9:10], 3, v[44:45]
	v_mov_b32_e32 v11, s7
	v_add_co_u32_e32 v9, vcc, s6, v9
	v_addc_co_u32_e32 v10, vcc, v11, v10, vcc
	global_load_dwordx2 v[9:10], v[9:10], off
	v_mov_b32_e32 v12, s7
	v_add_co_u32_e32 v11, vcc, s6, v0
	v_addc_co_u32_e32 v12, vcc, v12, v1, vcc
	global_load_dwordx2 v[13:14], v[11:12], off offset:1584
	ds_write2_b32 v51, v7, v8 offset1:1
	ds_write_b64 v6, v[2:3] offset:9504
	v_lshl_add_u32 v17, v46, 3, v52
	ds_read_b64 v[2:3], v17
	ds_read_b64 v[7:8], v6 offset:8976
	global_load_dwordx2 v[15:16], v[11:12], off offset:2112
	v_lshl_add_u32 v18, v44, 3, v52
	s_movk_i32 s4, 0x1000
	s_waitcnt lgkmcnt(0)
	v_add_f32_e32 v19, v2, v7
	v_sub_f32_e32 v2, v2, v7
	v_add_f32_e32 v20, v3, v8
	v_sub_f32_e32 v3, v3, v8
	v_mul_f32_e32 v2, 0.5, v2
	v_mul_f32_e32 v7, 0.5, v20
	;; [unrolled: 1-line block ×3, first 2 shown]
	s_waitcnt vmcnt(3)
	v_mul_f32_e32 v8, v5, v2
	v_fma_f32 v20, v7, v5, v3
	v_fma_f32 v3, v7, v5, -v3
	v_fma_f32 v5, 0.5, v19, v8
	v_fma_f32 v20, -v4, v2, v20
	v_fma_f32 v8, v19, 0.5, -v8
	v_fmac_f32_e32 v5, v4, v7
	v_fma_f32 v3, -v4, v2, v3
	v_fma_f32 v2, -v4, v7, v8
	ds_write2_b32 v17, v5, v20 offset1:1
	ds_write_b64 v6, v[2:3] offset:8976
	ds_read_b64 v[2:3], v18
	ds_read_b64 v[4:5], v6 offset:8448
	global_load_dwordx2 v[7:8], v[11:12], off offset:2640
	s_waitcnt lgkmcnt(0)
	v_add_f32_e32 v17, v2, v4
	v_sub_f32_e32 v2, v2, v4
	v_add_f32_e32 v19, v3, v5
	v_sub_f32_e32 v3, v3, v5
	v_mul_f32_e32 v2, 0.5, v2
	v_mul_f32_e32 v4, 0.5, v19
	;; [unrolled: 1-line block ×3, first 2 shown]
	s_waitcnt vmcnt(3)
	v_mul_f32_e32 v5, v10, v2
	v_fma_f32 v19, v4, v10, v3
	v_fma_f32 v3, v4, v10, -v3
	v_fma_f32 v10, 0.5, v17, v5
	v_fma_f32 v19, -v9, v2, v19
	v_fma_f32 v5, v17, 0.5, -v5
	v_fmac_f32_e32 v10, v9, v4
	v_fma_f32 v3, -v9, v2, v3
	v_fma_f32 v2, -v9, v4, v5
	ds_write2_b32 v18, v10, v19 offset1:1
	ds_write_b64 v6, v[2:3] offset:8448
	ds_read_b64 v[2:3], v51 offset:1584
	ds_read_b64 v[4:5], v6 offset:7920
	global_load_dwordx2 v[9:10], v[11:12], off offset:3168
	v_add_u32_e32 v17, 0x400, v51
	s_waitcnt lgkmcnt(0)
	v_add_f32_e32 v18, v2, v4
	v_sub_f32_e32 v2, v2, v4
	v_add_f32_e32 v19, v3, v5
	v_sub_f32_e32 v3, v3, v5
	v_mul_f32_e32 v2, 0.5, v2
	v_mul_f32_e32 v4, 0.5, v19
	v_mul_f32_e32 v3, 0.5, v3
	s_waitcnt vmcnt(3)
	v_mul_f32_e32 v5, v14, v2
	v_fma_f32 v19, v4, v14, v3
	v_fma_f32 v3, v4, v14, -v3
	v_fma_f32 v14, 0.5, v18, v5
	v_fma_f32 v19, -v13, v2, v19
	v_fma_f32 v5, v18, 0.5, -v5
	v_fmac_f32_e32 v14, v13, v4
	v_fma_f32 v3, -v13, v2, v3
	v_fma_f32 v2, -v13, v4, v5
	ds_write2_b32 v17, v14, v19 offset0:140 offset1:141
	ds_write_b64 v6, v[2:3] offset:7920
	ds_read_b64 v[3:4], v51 offset:2112
	ds_read_b64 v[13:14], v6 offset:7392
	global_load_dwordx2 v[17:18], v[11:12], off offset:3696
	v_add_u32_e32 v2, 0x800, v51
	v_add_co_u32_e32 v11, vcc, s4, v11
	s_waitcnt lgkmcnt(0)
	v_add_f32_e32 v5, v3, v13
	v_sub_f32_e32 v3, v3, v13
	v_add_f32_e32 v19, v4, v14
	v_sub_f32_e32 v4, v4, v14
	v_mul_f32_e32 v3, 0.5, v3
	v_mul_f32_e32 v13, 0.5, v19
	;; [unrolled: 1-line block ×3, first 2 shown]
	s_waitcnt vmcnt(3)
	v_mul_f32_e32 v14, v16, v3
	v_fma_f32 v19, v13, v16, v4
	v_fma_f32 v4, v13, v16, -v4
	v_fma_f32 v16, 0.5, v5, v14
	v_fma_f32 v19, -v15, v3, v19
	v_fma_f32 v5, v5, 0.5, -v14
	v_fmac_f32_e32 v16, v15, v13
	v_fma_f32 v4, -v15, v3, v4
	v_fma_f32 v3, -v15, v13, v5
	ds_write2_b32 v2, v16, v19 offset0:16 offset1:17
	ds_write_b64 v6, v[3:4] offset:7392
	v_addc_co_u32_e32 v12, vcc, 0, v12, vcc
	ds_read_b64 v[3:4], v51 offset:2640
	ds_read_b64 v[13:14], v6 offset:6864
	global_load_dwordx2 v[11:12], v[11:12], off offset:128
	s_waitcnt lgkmcnt(0)
	v_add_f32_e32 v5, v3, v13
	v_sub_f32_e32 v3, v3, v13
	v_add_f32_e32 v15, v4, v14
	v_sub_f32_e32 v4, v4, v14
	v_mul_f32_e32 v14, 0.5, v3
	v_mul_f32_e32 v13, 0.5, v15
	;; [unrolled: 1-line block ×3, first 2 shown]
	s_waitcnt vmcnt(3)
	v_mul_f32_e32 v3, v8, v14
	v_fma_f32 v15, v13, v8, v4
	v_fma_f32 v16, 0.5, v5, v3
	v_fmac_f32_e32 v16, v7, v13
	v_fma_f32 v15, -v7, v14, v15
	v_fma_f32 v3, v5, 0.5, -v3
	v_fma_f32 v4, v13, v8, -v4
	v_fma_f32 v3, -v7, v13, v3
	v_fma_f32 v4, -v7, v14, v4
	ds_write2_b32 v2, v16, v15 offset0:148 offset1:149
	ds_write_b64 v6, v[3:4] offset:6864
	ds_read_b64 v[3:4], v51 offset:3168
	ds_read_b64 v[7:8], v6 offset:6336
	s_waitcnt lgkmcnt(0)
	v_add_f32_e32 v5, v3, v7
	v_sub_f32_e32 v3, v3, v7
	v_add_f32_e32 v13, v4, v8
	v_sub_f32_e32 v4, v4, v8
	v_mul_f32_e32 v7, 0.5, v3
	v_mul_f32_e32 v13, 0.5, v13
	;; [unrolled: 1-line block ×3, first 2 shown]
	s_waitcnt vmcnt(2)
	v_mul_f32_e32 v3, v10, v7
	v_fma_f32 v8, 0.5, v5, v3
	v_fma_f32 v14, v13, v10, v4
	v_fmac_f32_e32 v8, v9, v13
	v_fma_f32 v14, -v9, v7, v14
	v_fma_f32 v3, v5, 0.5, -v3
	v_fma_f32 v4, v13, v10, -v4
	v_add_u32_e32 v5, 0xc00, v51
	v_fma_f32 v3, -v9, v13, v3
	v_fma_f32 v4, -v9, v7, v4
	ds_write2_b32 v5, v8, v14 offset0:24 offset1:25
	ds_write_b64 v6, v[3:4] offset:6336
	ds_read_b64 v[3:4], v51 offset:3696
	ds_read_b64 v[7:8], v6 offset:5808
	s_waitcnt lgkmcnt(0)
	v_add_f32_e32 v9, v3, v7
	v_sub_f32_e32 v3, v3, v7
	v_add_f32_e32 v10, v4, v8
	v_sub_f32_e32 v4, v4, v8
	v_mul_f32_e32 v7, 0.5, v3
	v_mul_f32_e32 v10, 0.5, v10
	;; [unrolled: 1-line block ×3, first 2 shown]
	s_waitcnt vmcnt(1)
	v_mul_f32_e32 v3, v18, v7
	v_fma_f32 v8, 0.5, v9, v3
	v_fma_f32 v13, v10, v18, v4
	v_fmac_f32_e32 v8, v17, v10
	v_fma_f32 v13, -v17, v7, v13
	v_fma_f32 v3, v9, 0.5, -v3
	v_fma_f32 v4, v10, v18, -v4
	v_fma_f32 v3, -v17, v10, v3
	v_fma_f32 v4, -v17, v7, v4
	ds_write2_b32 v5, v8, v13 offset0:156 offset1:157
	ds_write_b64 v6, v[3:4] offset:5808
	ds_read_b64 v[3:4], v51 offset:4224
	ds_read_b64 v[7:8], v6 offset:5280
	s_waitcnt lgkmcnt(0)
	v_add_f32_e32 v5, v3, v7
	v_sub_f32_e32 v3, v3, v7
	v_add_f32_e32 v9, v4, v8
	v_sub_f32_e32 v4, v4, v8
	v_mul_f32_e32 v7, 0.5, v3
	v_mul_f32_e32 v9, 0.5, v9
	;; [unrolled: 1-line block ×3, first 2 shown]
	s_waitcnt vmcnt(0)
	v_mul_f32_e32 v3, v12, v7
	v_fma_f32 v8, 0.5, v5, v3
	v_fma_f32 v10, v9, v12, v4
	v_fmac_f32_e32 v8, v11, v9
	v_fma_f32 v10, -v11, v7, v10
	v_fma_f32 v3, v5, 0.5, -v3
	v_fma_f32 v4, v9, v12, -v4
	v_add_u32_e32 v5, 0x1000, v51
	v_fma_f32 v3, -v11, v9, v3
	v_fma_f32 v4, -v11, v7, v4
	ds_write2_b32 v5, v8, v10 offset0:32 offset1:33
	ds_write_b64 v6, v[3:4] offset:5280
	s_waitcnt lgkmcnt(0)
	s_barrier
	s_and_saveexec_b64 s[6:7], s[0:1]
	s_cbranch_execz .LBB0_23
; %bb.21:
	ds_read2_b64 v[6:9], v51 offset1:66
	v_mov_b32_e32 v3, s3
	v_add_co_u32_e32 v4, vcc, s2, v42
	ds_read2_b64 v[10:13], v51 offset0:132 offset1:198
	v_addc_co_u32_e32 v3, vcc, v3, v43, vcc
	v_add_co_u32_e32 v0, vcc, v4, v0
	ds_read2_b64 v[14:17], v2 offset0:8 offset1:74
	v_addc_co_u32_e32 v1, vcc, v3, v1, vcc
	s_waitcnt lgkmcnt(2)
	global_store_dwordx2 v[0:1], v[6:7], off
	global_store_dwordx2 v[0:1], v[8:9], off offset:528
	ds_read2_b64 v[6:9], v2 offset0:140 offset1:206
	s_waitcnt lgkmcnt(2)
	global_store_dwordx2 v[0:1], v[10:11], off offset:1056
	global_store_dwordx2 v[0:1], v[12:13], off offset:1584
	s_waitcnt lgkmcnt(1)
	global_store_dwordx2 v[0:1], v[14:15], off offset:2112
	global_store_dwordx2 v[0:1], v[16:17], off offset:2640
	;; [unrolled: 3-line block ×3, first 2 shown]
	ds_read2_b64 v[6:9], v5 offset0:16 offset1:82
	ds_read2_b64 v[10:13], v5 offset0:148 offset1:214
	v_add_u32_e32 v2, 0x1800, v51
	v_add_co_u32_e32 v18, vcc, s4, v0
	ds_read2_b64 v[14:17], v2 offset0:24 offset1:90
	v_addc_co_u32_e32 v19, vcc, 0, v1, vcc
	s_waitcnt lgkmcnt(2)
	global_store_dwordx2 v[18:19], v[6:7], off offset:128
	global_store_dwordx2 v[18:19], v[8:9], off offset:656
	ds_read2_b64 v[5:8], v2 offset0:156 offset1:222
	s_waitcnt lgkmcnt(2)
	global_store_dwordx2 v[18:19], v[10:11], off offset:1184
	global_store_dwordx2 v[18:19], v[12:13], off offset:1712
	s_waitcnt lgkmcnt(1)
	global_store_dwordx2 v[18:19], v[14:15], off offset:2240
	global_store_dwordx2 v[18:19], v[16:17], off offset:2768
	;; [unrolled: 3-line block ×3, first 2 shown]
	v_add_u32_e32 v2, 0x2000, v51
	ds_read2_b64 v[5:8], v2 offset0:32 offset1:98
	v_add_co_u32_e32 v0, vcc, 0x2000, v0
	v_addc_co_u32_e32 v1, vcc, 0, v1, vcc
	s_movk_i32 s0, 0x41
	v_cmp_eq_u32_e32 vcc, s0, v40
	s_waitcnt lgkmcnt(0)
	global_store_dwordx2 v[0:1], v[5:6], off offset:256
	global_store_dwordx2 v[0:1], v[7:8], off offset:784
	s_and_b64 exec, exec, vcc
	s_cbranch_execz .LBB0_23
; %bb.22:
	ds_read_b64 v[0:1], v51 offset:8984
	v_add_co_u32_e32 v2, vcc, 0x2000, v4
	v_addc_co_u32_e32 v3, vcc, 0, v3, vcc
	s_waitcnt lgkmcnt(0)
	global_store_dwordx2 v[2:3], v[0:1], off offset:1312
.LBB0_23:
	s_endpgm
	.section	.rodata,"a",@progbits
	.p2align	6, 0x0
	.amdhsa_kernel fft_rtc_fwd_len1188_factors_6_11_2_3_3_wgs_198_tpt_66_halfLds_sp_ip_CI_unitstride_sbrr_R2C_dirReg
		.amdhsa_group_segment_fixed_size 0
		.amdhsa_private_segment_fixed_size 0
		.amdhsa_kernarg_size 88
		.amdhsa_user_sgpr_count 6
		.amdhsa_user_sgpr_private_segment_buffer 1
		.amdhsa_user_sgpr_dispatch_ptr 0
		.amdhsa_user_sgpr_queue_ptr 0
		.amdhsa_user_sgpr_kernarg_segment_ptr 1
		.amdhsa_user_sgpr_dispatch_id 0
		.amdhsa_user_sgpr_flat_scratch_init 0
		.amdhsa_user_sgpr_private_segment_size 0
		.amdhsa_uses_dynamic_stack 0
		.amdhsa_system_sgpr_private_segment_wavefront_offset 0
		.amdhsa_system_sgpr_workgroup_id_x 1
		.amdhsa_system_sgpr_workgroup_id_y 0
		.amdhsa_system_sgpr_workgroup_id_z 0
		.amdhsa_system_sgpr_workgroup_info 0
		.amdhsa_system_vgpr_workitem_id 0
		.amdhsa_next_free_vgpr 107
		.amdhsa_next_free_sgpr 22
		.amdhsa_reserve_vcc 1
		.amdhsa_reserve_flat_scratch 0
		.amdhsa_float_round_mode_32 0
		.amdhsa_float_round_mode_16_64 0
		.amdhsa_float_denorm_mode_32 3
		.amdhsa_float_denorm_mode_16_64 3
		.amdhsa_dx10_clamp 1
		.amdhsa_ieee_mode 1
		.amdhsa_fp16_overflow 0
		.amdhsa_exception_fp_ieee_invalid_op 0
		.amdhsa_exception_fp_denorm_src 0
		.amdhsa_exception_fp_ieee_div_zero 0
		.amdhsa_exception_fp_ieee_overflow 0
		.amdhsa_exception_fp_ieee_underflow 0
		.amdhsa_exception_fp_ieee_inexact 0
		.amdhsa_exception_int_div_zero 0
	.end_amdhsa_kernel
	.text
.Lfunc_end0:
	.size	fft_rtc_fwd_len1188_factors_6_11_2_3_3_wgs_198_tpt_66_halfLds_sp_ip_CI_unitstride_sbrr_R2C_dirReg, .Lfunc_end0-fft_rtc_fwd_len1188_factors_6_11_2_3_3_wgs_198_tpt_66_halfLds_sp_ip_CI_unitstride_sbrr_R2C_dirReg
                                        ; -- End function
	.section	.AMDGPU.csdata,"",@progbits
; Kernel info:
; codeLenInByte = 12532
; NumSgprs: 26
; NumVgprs: 107
; ScratchSize: 0
; MemoryBound: 0
; FloatMode: 240
; IeeeMode: 1
; LDSByteSize: 0 bytes/workgroup (compile time only)
; SGPRBlocks: 3
; VGPRBlocks: 26
; NumSGPRsForWavesPerEU: 26
; NumVGPRsForWavesPerEU: 107
; Occupancy: 2
; WaveLimiterHint : 1
; COMPUTE_PGM_RSRC2:SCRATCH_EN: 0
; COMPUTE_PGM_RSRC2:USER_SGPR: 6
; COMPUTE_PGM_RSRC2:TRAP_HANDLER: 0
; COMPUTE_PGM_RSRC2:TGID_X_EN: 1
; COMPUTE_PGM_RSRC2:TGID_Y_EN: 0
; COMPUTE_PGM_RSRC2:TGID_Z_EN: 0
; COMPUTE_PGM_RSRC2:TIDIG_COMP_CNT: 0
	.type	__hip_cuid_ecdb1f4f1be7d8b6,@object ; @__hip_cuid_ecdb1f4f1be7d8b6
	.section	.bss,"aw",@nobits
	.globl	__hip_cuid_ecdb1f4f1be7d8b6
__hip_cuid_ecdb1f4f1be7d8b6:
	.byte	0                               ; 0x0
	.size	__hip_cuid_ecdb1f4f1be7d8b6, 1

	.ident	"AMD clang version 19.0.0git (https://github.com/RadeonOpenCompute/llvm-project roc-6.4.0 25133 c7fe45cf4b819c5991fe208aaa96edf142730f1d)"
	.section	".note.GNU-stack","",@progbits
	.addrsig
	.addrsig_sym __hip_cuid_ecdb1f4f1be7d8b6
	.amdgpu_metadata
---
amdhsa.kernels:
  - .args:
      - .actual_access:  read_only
        .address_space:  global
        .offset:         0
        .size:           8
        .value_kind:     global_buffer
      - .offset:         8
        .size:           8
        .value_kind:     by_value
      - .actual_access:  read_only
        .address_space:  global
        .offset:         16
        .size:           8
        .value_kind:     global_buffer
      - .actual_access:  read_only
        .address_space:  global
        .offset:         24
        .size:           8
        .value_kind:     global_buffer
      - .offset:         32
        .size:           8
        .value_kind:     by_value
      - .actual_access:  read_only
        .address_space:  global
        .offset:         40
        .size:           8
        .value_kind:     global_buffer
      - .actual_access:  read_only
        .address_space:  global
        .offset:         48
        .size:           8
        .value_kind:     global_buffer
      - .offset:         56
        .size:           4
        .value_kind:     by_value
      - .actual_access:  read_only
        .address_space:  global
        .offset:         64
        .size:           8
        .value_kind:     global_buffer
      - .actual_access:  read_only
        .address_space:  global
        .offset:         72
        .size:           8
        .value_kind:     global_buffer
      - .address_space:  global
        .offset:         80
        .size:           8
        .value_kind:     global_buffer
    .group_segment_fixed_size: 0
    .kernarg_segment_align: 8
    .kernarg_segment_size: 88
    .language:       OpenCL C
    .language_version:
      - 2
      - 0
    .max_flat_workgroup_size: 198
    .name:           fft_rtc_fwd_len1188_factors_6_11_2_3_3_wgs_198_tpt_66_halfLds_sp_ip_CI_unitstride_sbrr_R2C_dirReg
    .private_segment_fixed_size: 0
    .sgpr_count:     26
    .sgpr_spill_count: 0
    .symbol:         fft_rtc_fwd_len1188_factors_6_11_2_3_3_wgs_198_tpt_66_halfLds_sp_ip_CI_unitstride_sbrr_R2C_dirReg.kd
    .uniform_work_group_size: 1
    .uses_dynamic_stack: false
    .vgpr_count:     107
    .vgpr_spill_count: 0
    .wavefront_size: 64
amdhsa.target:   amdgcn-amd-amdhsa--gfx906
amdhsa.version:
  - 1
  - 2
...

	.end_amdgpu_metadata
